;; amdgpu-corpus repo=ROCm/rocFFT kind=compiled arch=gfx906 opt=O3
	.text
	.amdgcn_target "amdgcn-amd-amdhsa--gfx906"
	.amdhsa_code_object_version 6
	.protected	fft_rtc_back_len1188_factors_6_11_2_3_3_wgs_198_tpt_66_halfLds_dp_op_CI_CI_sbrr_dirReg ; -- Begin function fft_rtc_back_len1188_factors_6_11_2_3_3_wgs_198_tpt_66_halfLds_dp_op_CI_CI_sbrr_dirReg
	.globl	fft_rtc_back_len1188_factors_6_11_2_3_3_wgs_198_tpt_66_halfLds_dp_op_CI_CI_sbrr_dirReg
	.p2align	8
	.type	fft_rtc_back_len1188_factors_6_11_2_3_3_wgs_198_tpt_66_halfLds_dp_op_CI_CI_sbrr_dirReg,@function
fft_rtc_back_len1188_factors_6_11_2_3_3_wgs_198_tpt_66_halfLds_dp_op_CI_CI_sbrr_dirReg: ; @fft_rtc_back_len1188_factors_6_11_2_3_3_wgs_198_tpt_66_halfLds_dp_op_CI_CI_sbrr_dirReg
; %bb.0:
	s_load_dwordx4 s[16:19], s[4:5], 0x18
	s_load_dwordx4 s[12:15], s[4:5], 0x0
	;; [unrolled: 1-line block ×3, first 2 shown]
	v_mul_u32_u24_e32 v1, 0x3e1, v0
	v_lshrrev_b32_e32 v1, 16, v1
	s_waitcnt lgkmcnt(0)
	s_load_dwordx2 s[20:21], s[16:17], 0x0
	s_load_dwordx2 s[2:3], s[18:19], 0x0
	v_mad_u64_u32 v[1:2], s[0:1], s6, 3, v[1:2]
	v_mov_b32_e32 v5, 0
	v_mov_b32_e32 v3, 0
	;; [unrolled: 1-line block ×3, first 2 shown]
	v_cmp_lt_u64_e64 s[0:1], s[14:15], 2
	v_mov_b32_e32 v4, 0
	v_mov_b32_e32 v117, v4
	;; [unrolled: 1-line block ×3, first 2 shown]
	s_and_b64 vcc, exec, s[0:1]
	v_mov_b32_e32 v116, v3
	v_mov_b32_e32 v118, v1
	s_cbranch_vccnz .LBB0_8
; %bb.1:
	s_load_dwordx2 s[0:1], s[4:5], 0x10
	s_add_u32 s6, s18, 8
	s_addc_u32 s7, s19, 0
	s_add_u32 s22, s16, 8
	v_mov_b32_e32 v3, 0
	s_addc_u32 s23, s17, 0
	v_mov_b32_e32 v4, 0
	s_waitcnt lgkmcnt(0)
	s_add_u32 s24, s0, 8
	v_mov_b32_e32 v117, v4
	v_mov_b32_e32 v8, v2
	s_addc_u32 s25, s1, 0
	s_mov_b64 s[26:27], 1
	v_mov_b32_e32 v116, v3
	v_mov_b32_e32 v7, v1
.LBB0_2:                                ; =>This Inner Loop Header: Depth=1
	s_load_dwordx2 s[28:29], s[24:25], 0x0
                                        ; implicit-def: $vgpr118_vgpr119
	s_waitcnt lgkmcnt(0)
	v_or_b32_e32 v6, s29, v8
	v_cmp_ne_u64_e32 vcc, 0, v[5:6]
	s_and_saveexec_b64 s[0:1], vcc
	s_xor_b64 s[30:31], exec, s[0:1]
	s_cbranch_execz .LBB0_4
; %bb.3:                                ;   in Loop: Header=BB0_2 Depth=1
	v_cvt_f32_u32_e32 v2, s28
	v_cvt_f32_u32_e32 v6, s29
	s_sub_u32 s0, 0, s28
	s_subb_u32 s1, 0, s29
	v_mac_f32_e32 v2, 0x4f800000, v6
	v_rcp_f32_e32 v2, v2
	v_mul_f32_e32 v2, 0x5f7ffffc, v2
	v_mul_f32_e32 v6, 0x2f800000, v2
	v_trunc_f32_e32 v6, v6
	v_mac_f32_e32 v2, 0xcf800000, v6
	v_cvt_u32_f32_e32 v6, v6
	v_cvt_u32_f32_e32 v2, v2
	v_mul_lo_u32 v9, s0, v6
	v_mul_hi_u32 v10, s0, v2
	v_mul_lo_u32 v12, s1, v2
	v_mul_lo_u32 v11, s0, v2
	v_add_u32_e32 v9, v10, v9
	v_add_u32_e32 v9, v9, v12
	v_mul_hi_u32 v10, v2, v11
	v_mul_lo_u32 v12, v2, v9
	v_mul_hi_u32 v14, v2, v9
	v_mul_hi_u32 v13, v6, v11
	v_mul_lo_u32 v11, v6, v11
	v_mul_hi_u32 v15, v6, v9
	v_add_co_u32_e32 v10, vcc, v10, v12
	v_addc_co_u32_e32 v12, vcc, 0, v14, vcc
	v_mul_lo_u32 v9, v6, v9
	v_add_co_u32_e32 v10, vcc, v10, v11
	v_addc_co_u32_e32 v10, vcc, v12, v13, vcc
	v_addc_co_u32_e32 v11, vcc, 0, v15, vcc
	v_add_co_u32_e32 v9, vcc, v10, v9
	v_addc_co_u32_e32 v10, vcc, 0, v11, vcc
	v_add_co_u32_e32 v2, vcc, v2, v9
	v_addc_co_u32_e32 v6, vcc, v6, v10, vcc
	v_mul_lo_u32 v9, s0, v6
	v_mul_hi_u32 v10, s0, v2
	v_mul_lo_u32 v11, s1, v2
	v_mul_lo_u32 v12, s0, v2
	v_add_u32_e32 v9, v10, v9
	v_add_u32_e32 v9, v9, v11
	v_mul_lo_u32 v13, v2, v9
	v_mul_hi_u32 v14, v2, v12
	v_mul_hi_u32 v15, v2, v9
	;; [unrolled: 1-line block ×3, first 2 shown]
	v_mul_lo_u32 v12, v6, v12
	v_mul_hi_u32 v10, v6, v9
	v_add_co_u32_e32 v13, vcc, v14, v13
	v_addc_co_u32_e32 v14, vcc, 0, v15, vcc
	v_mul_lo_u32 v9, v6, v9
	v_add_co_u32_e32 v12, vcc, v13, v12
	v_addc_co_u32_e32 v11, vcc, v14, v11, vcc
	v_addc_co_u32_e32 v10, vcc, 0, v10, vcc
	v_add_co_u32_e32 v9, vcc, v11, v9
	v_addc_co_u32_e32 v10, vcc, 0, v10, vcc
	v_add_co_u32_e32 v2, vcc, v2, v9
	v_addc_co_u32_e32 v6, vcc, v6, v10, vcc
	v_mad_u64_u32 v[9:10], s[0:1], v7, v6, 0
	v_mul_hi_u32 v11, v7, v2
	v_add_co_u32_e32 v13, vcc, v11, v9
	v_addc_co_u32_e32 v14, vcc, 0, v10, vcc
	v_mad_u64_u32 v[9:10], s[0:1], v8, v2, 0
	v_mad_u64_u32 v[11:12], s[0:1], v8, v6, 0
	v_add_co_u32_e32 v2, vcc, v13, v9
	v_addc_co_u32_e32 v2, vcc, v14, v10, vcc
	v_addc_co_u32_e32 v6, vcc, 0, v12, vcc
	v_add_co_u32_e32 v2, vcc, v2, v11
	v_addc_co_u32_e32 v6, vcc, 0, v6, vcc
	v_mul_lo_u32 v11, s29, v2
	v_mul_lo_u32 v12, s28, v6
	v_mad_u64_u32 v[9:10], s[0:1], s28, v2, 0
	v_add3_u32 v10, v10, v12, v11
	v_sub_u32_e32 v11, v8, v10
	v_mov_b32_e32 v12, s29
	v_sub_co_u32_e32 v9, vcc, v7, v9
	v_subb_co_u32_e64 v11, s[0:1], v11, v12, vcc
	v_subrev_co_u32_e64 v12, s[0:1], s28, v9
	v_subbrev_co_u32_e64 v11, s[0:1], 0, v11, s[0:1]
	v_cmp_le_u32_e64 s[0:1], s29, v11
	v_cndmask_b32_e64 v13, 0, -1, s[0:1]
	v_cmp_le_u32_e64 s[0:1], s28, v12
	v_cndmask_b32_e64 v12, 0, -1, s[0:1]
	v_cmp_eq_u32_e64 s[0:1], s29, v11
	v_cndmask_b32_e64 v11, v13, v12, s[0:1]
	v_add_co_u32_e64 v12, s[0:1], 2, v2
	v_addc_co_u32_e64 v13, s[0:1], 0, v6, s[0:1]
	v_add_co_u32_e64 v14, s[0:1], 1, v2
	v_addc_co_u32_e64 v15, s[0:1], 0, v6, s[0:1]
	v_subb_co_u32_e32 v10, vcc, v8, v10, vcc
	v_cmp_ne_u32_e64 s[0:1], 0, v11
	v_cmp_le_u32_e32 vcc, s29, v10
	v_cndmask_b32_e64 v11, v15, v13, s[0:1]
	v_cndmask_b32_e64 v13, 0, -1, vcc
	v_cmp_le_u32_e32 vcc, s28, v9
	v_cndmask_b32_e64 v9, 0, -1, vcc
	v_cmp_eq_u32_e32 vcc, s29, v10
	v_cndmask_b32_e32 v9, v13, v9, vcc
	v_cmp_ne_u32_e32 vcc, 0, v9
	v_cndmask_b32_e32 v119, v6, v11, vcc
	v_cndmask_b32_e64 v6, v14, v12, s[0:1]
	v_cndmask_b32_e32 v118, v2, v6, vcc
.LBB0_4:                                ;   in Loop: Header=BB0_2 Depth=1
	s_andn2_saveexec_b64 s[0:1], s[30:31]
	s_cbranch_execz .LBB0_6
; %bb.5:                                ;   in Loop: Header=BB0_2 Depth=1
	v_cvt_f32_u32_e32 v2, s28
	s_sub_i32 s30, 0, s28
	v_mov_b32_e32 v119, v5
	v_rcp_iflag_f32_e32 v2, v2
	v_mul_f32_e32 v2, 0x4f7ffffe, v2
	v_cvt_u32_f32_e32 v2, v2
	v_mul_lo_u32 v6, s30, v2
	v_mul_hi_u32 v6, v2, v6
	v_add_u32_e32 v2, v2, v6
	v_mul_hi_u32 v2, v7, v2
	v_mul_lo_u32 v6, v2, s28
	v_add_u32_e32 v9, 1, v2
	v_sub_u32_e32 v6, v7, v6
	v_subrev_u32_e32 v10, s28, v6
	v_cmp_le_u32_e32 vcc, s28, v6
	v_cndmask_b32_e32 v6, v6, v10, vcc
	v_cndmask_b32_e32 v2, v2, v9, vcc
	v_add_u32_e32 v9, 1, v2
	v_cmp_le_u32_e32 vcc, s28, v6
	v_cndmask_b32_e32 v118, v2, v9, vcc
.LBB0_6:                                ;   in Loop: Header=BB0_2 Depth=1
	s_or_b64 exec, exec, s[0:1]
	v_mul_lo_u32 v2, v119, s28
	v_mul_lo_u32 v6, v118, s29
	v_mad_u64_u32 v[9:10], s[0:1], v118, s28, 0
	s_load_dwordx2 s[0:1], s[22:23], 0x0
	s_load_dwordx2 s[28:29], s[6:7], 0x0
	v_add3_u32 v2, v10, v6, v2
	v_sub_co_u32_e32 v6, vcc, v7, v9
	v_subb_co_u32_e32 v2, vcc, v8, v2, vcc
	s_waitcnt lgkmcnt(0)
	v_mul_lo_u32 v7, s0, v2
	v_mul_lo_u32 v8, s1, v6
	v_mad_u64_u32 v[3:4], s[0:1], s0, v6, v[3:4]
	s_add_u32 s26, s26, 1
	s_addc_u32 s27, s27, 0
	s_add_u32 s6, s6, 8
	v_mul_lo_u32 v2, s28, v2
	v_mul_lo_u32 v9, s29, v6
	v_mad_u64_u32 v[116:117], s[0:1], s28, v6, v[116:117]
	v_add3_u32 v4, v8, v4, v7
	s_addc_u32 s7, s7, 0
	v_mov_b32_e32 v6, s14
	s_add_u32 s22, s22, 8
	v_mov_b32_e32 v7, s15
	s_addc_u32 s23, s23, 0
	v_cmp_ge_u64_e32 vcc, s[26:27], v[6:7]
	s_add_u32 s24, s24, 8
	v_add3_u32 v117, v9, v117, v2
	s_addc_u32 s25, s25, 0
	s_cbranch_vccnz .LBB0_8
; %bb.7:                                ;   in Loop: Header=BB0_2 Depth=1
	v_mov_b32_e32 v7, v118
	v_mov_b32_e32 v8, v119
	s_branch .LBB0_2
.LBB0_8:
	s_load_dwordx2 s[0:1], s[4:5], 0x28
	s_lshl_b64 s[14:15], s[14:15], 3
	s_add_u32 s4, s18, s14
	s_addc_u32 s5, s19, s15
                                        ; implicit-def: $vgpr120
                                        ; implicit-def: $vgpr134
                                        ; implicit-def: $vgpr132
	s_waitcnt lgkmcnt(0)
	v_cmp_gt_u64_e32 vcc, s[0:1], v[118:119]
	v_cmp_le_u64_e64 s[0:1], s[0:1], v[118:119]
	s_and_saveexec_b64 s[6:7], s[0:1]
	s_xor_b64 s[0:1], exec, s[6:7]
; %bb.9:
	s_mov_b32 s6, 0x3e0f83f
	v_mul_hi_u32 v2, v0, s6
                                        ; implicit-def: $vgpr3_vgpr4
	v_mul_u32_u24_e32 v2, 0x42, v2
	v_sub_u32_e32 v120, v0, v2
	v_add_u32_e32 v134, 0x42, v120
	v_add_u32_e32 v132, 0x84, v120
                                        ; implicit-def: $vgpr0
; %bb.10:
	s_or_saveexec_b64 s[6:7], s[0:1]
                                        ; implicit-def: $vgpr46_vgpr47
                                        ; implicit-def: $vgpr54_vgpr55
                                        ; implicit-def: $vgpr74_vgpr75
                                        ; implicit-def: $vgpr58_vgpr59
                                        ; implicit-def: $vgpr50_vgpr51
                                        ; implicit-def: $vgpr131
                                        ; implicit-def: $vgpr62_vgpr63
                                        ; implicit-def: $vgpr66_vgpr67
                                        ; implicit-def: $vgpr70_vgpr71
                                        ; implicit-def: $vgpr86_vgpr87
                                        ; implicit-def: $vgpr90_vgpr91
                                        ; implicit-def: $vgpr82_vgpr83
                                        ; implicit-def: $vgpr78_vgpr79
                                        ; implicit-def: $vgpr94_vgpr95
                                        ; implicit-def: $vgpr98_vgpr99
                                        ; implicit-def: $vgpr110_vgpr111
                                        ; implicit-def: $vgpr114_vgpr115
                                        ; implicit-def: $vgpr106_vgpr107
                                        ; implicit-def: $vgpr102_vgpr103
	s_xor_b64 exec, exec, s[6:7]
	s_cbranch_execz .LBB0_12
; %bb.11:
	s_add_u32 s0, s16, s14
	s_mov_b32 s14, 0x3e0f83f
	v_mul_hi_u32 v2, v0, s14
	s_addc_u32 s1, s17, s15
	s_load_dwordx2 s[0:1], s[0:1], 0x0
	v_mul_u32_u24_e32 v2, 0x42, v2
	v_sub_u32_e32 v120, v0, v2
	v_mad_u64_u32 v[5:6], s[14:15], s20, v120, 0
	s_waitcnt lgkmcnt(0)
	v_mul_lo_u32 v2, s1, v118
	v_mul_lo_u32 v11, s0, v119
	v_mad_u64_u32 v[7:8], s[0:1], s0, v118, 0
	v_mov_b32_e32 v0, v6
	v_mad_u64_u32 v[9:10], s[0:1], s21, v120, v[0:1]
	v_add3_u32 v8, v8, v11, v2
	v_lshlrev_b64 v[7:8], 4, v[7:8]
	v_mov_b32_e32 v6, v9
	v_mov_b32_e32 v0, s9
	v_add_co_u32_e64 v9, s[0:1], s8, v7
	v_lshlrev_b64 v[2:3], 4, v[3:4]
	v_add_u32_e32 v4, 0xc6, v120
	v_addc_co_u32_e64 v0, s[0:1], v0, v8, s[0:1]
	v_mad_u64_u32 v[7:8], s[0:1], s20, v4, 0
	v_add_co_u32_e64 v41, s[0:1], v9, v2
	v_addc_co_u32_e64 v42, s[0:1], v0, v3, s[0:1]
	v_mov_b32_e32 v0, v8
	v_lshlrev_b64 v[2:3], 4, v[5:6]
	v_mad_u64_u32 v[4:5], s[0:1], s21, v4, v[0:1]
	v_add_u32_e32 v9, 0x18c, v120
	v_mad_u64_u32 v[5:6], s[0:1], s20, v9, 0
	v_add_co_u32_e64 v2, s[0:1], v41, v2
	v_mov_b32_e32 v0, v6
	v_addc_co_u32_e64 v3, s[0:1], v42, v3, s[0:1]
	v_mad_u64_u32 v[9:10], s[0:1], s21, v9, v[0:1]
	v_add_u32_e32 v12, 0x252, v120
	v_mad_u64_u32 v[10:11], s[0:1], s20, v12, 0
	v_mov_b32_e32 v8, v4
	v_lshlrev_b64 v[7:8], 4, v[7:8]
	v_mov_b32_e32 v6, v9
	v_add_co_u32_e64 v7, s[0:1], v41, v7
	v_mov_b32_e32 v0, v11
	v_addc_co_u32_e64 v8, s[0:1], v42, v8, s[0:1]
	v_lshlrev_b64 v[4:5], 4, v[5:6]
	v_mad_u64_u32 v[11:12], s[0:1], s21, v12, v[0:1]
	v_add_u32_e32 v6, 0x318, v120
	v_mad_u64_u32 v[12:13], s[0:1], s20, v6, 0
	v_add_co_u32_e64 v4, s[0:1], v41, v4
	v_mov_b32_e32 v0, v13
	v_addc_co_u32_e64 v5, s[0:1], v42, v5, s[0:1]
	v_mad_u64_u32 v[13:14], s[0:1], s21, v6, v[0:1]
	v_add_u32_e32 v6, 0x3de, v120
	v_mad_u64_u32 v[14:15], s[0:1], s20, v6, 0
	v_lshlrev_b64 v[9:10], 4, v[10:11]
	v_add_u32_e32 v134, 0x42, v120
	v_add_co_u32_e64 v9, s[0:1], v41, v9
	v_mov_b32_e32 v0, v15
	v_addc_co_u32_e64 v10, s[0:1], v42, v10, s[0:1]
	v_mad_u64_u32 v[15:16], s[0:1], s21, v6, v[0:1]
	v_mad_u64_u32 v[16:17], s[0:1], s20, v134, 0
	v_lshlrev_b64 v[11:12], 4, v[12:13]
	v_add_u32_e32 v6, 0x108, v120
	v_add_co_u32_e64 v11, s[0:1], v41, v11
	v_mov_b32_e32 v0, v17
	v_addc_co_u32_e64 v12, s[0:1], v42, v12, s[0:1]
	v_mad_u64_u32 v[17:18], s[0:1], s21, v134, v[0:1]
	v_mad_u64_u32 v[18:19], s[0:1], s20, v6, 0
	v_lshlrev_b64 v[13:14], 4, v[14:15]
	v_lshlrev_b64 v[15:16], 4, v[16:17]
	v_add_co_u32_e64 v13, s[0:1], v41, v13
	v_mov_b32_e32 v0, v19
	v_addc_co_u32_e64 v14, s[0:1], v42, v14, s[0:1]
	v_mad_u64_u32 v[19:20], s[0:1], s21, v6, v[0:1]
	v_add_u32_e32 v6, 0x1ce, v120
	v_mad_u64_u32 v[20:21], s[0:1], s20, v6, 0
	v_add_co_u32_e64 v15, s[0:1], v41, v15
	v_mov_b32_e32 v0, v21
	v_addc_co_u32_e64 v16, s[0:1], v42, v16, s[0:1]
	v_mad_u64_u32 v[21:22], s[0:1], s21, v6, v[0:1]
	v_add_u32_e32 v6, 0x294, v120
	v_mad_u64_u32 v[22:23], s[0:1], s20, v6, 0
	v_lshlrev_b64 v[17:18], 4, v[18:19]
	v_lshlrev_b64 v[19:20], 4, v[20:21]
	v_add_co_u32_e64 v17, s[0:1], v41, v17
	v_mov_b32_e32 v0, v23
	v_addc_co_u32_e64 v18, s[0:1], v42, v18, s[0:1]
	v_mad_u64_u32 v[23:24], s[0:1], s21, v6, v[0:1]
	v_add_u32_e32 v6, 0x35a, v120
	v_mad_u64_u32 v[24:25], s[0:1], s20, v6, 0
	v_add_co_u32_e64 v19, s[0:1], v41, v19
	v_mov_b32_e32 v0, v25
	v_addc_co_u32_e64 v20, s[0:1], v42, v20, s[0:1]
	v_mad_u64_u32 v[25:26], s[0:1], s21, v6, v[0:1]
	v_add_u32_e32 v6, 0x420, v120
	v_mad_u64_u32 v[26:27], s[0:1], s20, v6, 0
	v_lshlrev_b64 v[21:22], 4, v[22:23]
	v_add_u32_e32 v132, 0x84, v120
	v_add_co_u32_e64 v21, s[0:1], v41, v21
	v_mov_b32_e32 v0, v27
	v_addc_co_u32_e64 v22, s[0:1], v42, v22, s[0:1]
	v_mad_u64_u32 v[27:28], s[0:1], s21, v6, v[0:1]
	v_mad_u64_u32 v[28:29], s[0:1], s20, v132, 0
	v_lshlrev_b64 v[23:24], 4, v[24:25]
	v_add_u32_e32 v6, 0x14a, v120
	v_add_co_u32_e64 v23, s[0:1], v41, v23
	v_mov_b32_e32 v0, v29
	v_addc_co_u32_e64 v24, s[0:1], v42, v24, s[0:1]
	v_mad_u64_u32 v[29:30], s[0:1], s21, v132, v[0:1]
	v_mad_u64_u32 v[30:31], s[0:1], s20, v6, 0
	v_lshlrev_b64 v[25:26], 4, v[26:27]
	v_lshlrev_b64 v[27:28], 4, v[28:29]
	v_add_co_u32_e64 v25, s[0:1], v41, v25
	v_mov_b32_e32 v0, v31
	v_addc_co_u32_e64 v26, s[0:1], v42, v26, s[0:1]
	v_mad_u64_u32 v[31:32], s[0:1], s21, v6, v[0:1]
	v_add_u32_e32 v6, 0x210, v120
	v_mad_u64_u32 v[32:33], s[0:1], s20, v6, 0
	v_add_co_u32_e64 v27, s[0:1], v41, v27
	v_mov_b32_e32 v0, v33
	v_addc_co_u32_e64 v28, s[0:1], v42, v28, s[0:1]
	v_mad_u64_u32 v[33:34], s[0:1], s21, v6, v[0:1]
	v_add_u32_e32 v6, 0x2d6, v120
	v_mad_u64_u32 v[34:35], s[0:1], s20, v6, 0
	v_lshlrev_b64 v[29:30], 4, v[30:31]
	v_lshlrev_b64 v[31:32], 4, v[32:33]
	v_add_co_u32_e64 v29, s[0:1], v41, v29
	v_mov_b32_e32 v0, v35
	v_addc_co_u32_e64 v30, s[0:1], v42, v30, s[0:1]
	v_mad_u64_u32 v[35:36], s[0:1], s21, v6, v[0:1]
	v_add_u32_e32 v6, 0x39c, v120
	v_mad_u64_u32 v[36:37], s[0:1], s20, v6, 0
	v_add_co_u32_e64 v31, s[0:1], v41, v31
	v_mov_b32_e32 v0, v37
	v_addc_co_u32_e64 v32, s[0:1], v42, v32, s[0:1]
	v_mad_u64_u32 v[37:38], s[0:1], s21, v6, v[0:1]
	v_add_u32_e32 v6, 0x462, v120
	v_mad_u64_u32 v[38:39], s[0:1], s20, v6, 0
	v_lshlrev_b64 v[33:34], 4, v[34:35]
	v_lshlrev_b64 v[35:36], 4, v[36:37]
	v_add_co_u32_e64 v33, s[0:1], v41, v33
	v_mov_b32_e32 v0, v39
	v_addc_co_u32_e64 v34, s[0:1], v42, v34, s[0:1]
	v_mad_u64_u32 v[39:40], s[0:1], s21, v6, v[0:1]
	v_add_co_u32_e64 v35, s[0:1], v41, v35
	v_lshlrev_b64 v[37:38], 4, v[38:39]
	v_addc_co_u32_e64 v36, s[0:1], v42, v36, s[0:1]
	v_add_co_u32_e64 v37, s[0:1], v41, v37
	v_addc_co_u32_e64 v38, s[0:1], v42, v38, s[0:1]
	global_load_dwordx4 v[100:103], v[2:3], off
	global_load_dwordx4 v[104:107], v[7:8], off
	;; [unrolled: 1-line block ×15, first 2 shown]
                                        ; kill: killed $vgpr21 killed $vgpr22
                                        ; kill: killed $vgpr29 killed $vgpr30
                                        ; kill: killed $vgpr9 killed $vgpr10
                                        ; kill: killed $vgpr23 killed $vgpr24
                                        ; kill: killed $vgpr31 killed $vgpr32
                                        ; kill: killed $vgpr11 killed $vgpr12
                                        ; kill: killed $vgpr25 killed $vgpr26
                                        ; kill: killed $vgpr13 killed $vgpr14
                                        ; kill: killed $vgpr15 killed $vgpr16
                                        ; kill: killed $vgpr2 killed $vgpr3
                                        ; kill: killed $vgpr17 killed $vgpr18
                                        ; kill: killed $vgpr7 killed $vgpr8
                                        ; kill: killed $vgpr19 killed $vgpr20
                                        ; kill: killed $vgpr27 killed $vgpr28
                                        ; kill: killed $vgpr4 killed $vgpr5
	global_load_dwordx4 v[72:75], v[33:34], off
	global_load_dwordx4 v[52:55], v[35:36], off
	;; [unrolled: 1-line block ×3, first 2 shown]
	v_mov_b32_e32 v131, v120
.LBB0_12:
	s_or_b64 exec, exec, s[6:7]
	s_waitcnt vmcnt(12)
	v_add_f64 v[2:3], v[94:95], v[110:111]
	v_add_f64 v[6:7], v[92:93], v[108:109]
	v_add_f64 v[8:9], v[108:109], -v[92:93]
	s_mov_b32 s6, 0xe8584caa
	s_mov_b32 s7, 0xbfebb67a
	;; [unrolled: 1-line block ×4, first 2 shown]
	v_add_f64 v[4:5], v[96:97], v[112:113]
	v_fma_f64 v[2:3], v[2:3], -0.5, v[106:107]
	v_add_f64 v[12:13], v[110:111], -v[94:95]
	v_add_f64 v[16:17], v[108:109], v[104:105]
	v_fma_f64 v[6:7], v[6:7], -0.5, v[104:105]
	v_add_f64 v[10:11], v[114:115], -v[98:99]
	v_add_f64 v[14:15], v[112:113], v[100:101]
	s_waitcnt vmcnt(6)
	v_add_f64 v[20:21], v[66:67], v[86:87]
	v_fma_f64 v[4:5], v[4:5], -0.5, v[100:101]
	v_fma_f64 v[104:105], v[8:9], s[8:9], v[2:3]
	v_fma_f64 v[108:109], v[8:9], s[6:7], v[2:3]
	v_add_f64 v[2:3], v[68:69], v[88:89]
	v_fma_f64 v[125:126], v[12:13], s[6:7], v[6:7]
	v_fma_f64 v[121:122], v[12:13], s[8:9], v[6:7]
	v_add_f64 v[8:9], v[90:91], -v[70:71]
	v_add_f64 v[18:19], v[64:65], v[84:85]
	v_fma_f64 v[26:27], v[10:11], s[6:7], v[4:5]
	v_mul_f64 v[6:7], v[104:105], s[6:7]
	v_mul_f64 v[12:13], v[108:109], s[6:7]
	v_fma_f64 v[4:5], v[10:11], s[8:9], v[4:5]
	v_fma_f64 v[2:3], v[2:3], -0.5, v[76:77]
	v_add_f64 v[14:15], v[96:97], v[14:15]
	v_add_f64 v[16:17], v[92:93], v[16:17]
	v_fma_f64 v[32:33], v[20:21], -0.5, v[82:83]
	v_add_f64 v[30:31], v[86:87], -v[66:67]
	v_fma_f64 v[6:7], v[125:126], 0.5, v[6:7]
	v_fma_f64 v[10:11], v[121:122], -0.5, v[12:13]
	v_add_f64 v[12:13], v[84:85], -v[64:65]
	v_fma_f64 v[34:35], v[18:19], -0.5, v[80:81]
	s_waitcnt vmcnt(1)
	v_add_f64 v[42:43], v[58:59], -v[54:55]
	v_add_f64 v[18:19], v[16:17], v[14:15]
	v_add_f64 v[24:25], v[14:15], -v[16:17]
	s_waitcnt vmcnt(0)
	v_add_f64 v[16:17], v[72:73], -v[44:45]
	v_add_f64 v[20:21], v[26:27], v[6:7]
	v_add_f64 v[22:23], v[4:5], v[10:11]
	v_add_f64 v[26:27], v[26:27], -v[6:7]
	v_add_f64 v[28:29], v[4:5], -v[10:11]
	v_fma_f64 v[4:5], v[8:9], s[6:7], v[2:3]
	v_fma_f64 v[6:7], v[8:9], s[8:9], v[2:3]
	v_add_f64 v[2:3], v[46:47], v[74:75]
	v_fma_f64 v[100:101], v[12:13], s[8:9], v[32:33]
	v_fma_f64 v[129:130], v[12:13], s[6:7], v[32:33]
	v_add_f64 v[10:11], v[44:45], v[72:73]
	v_add_f64 v[12:13], v[84:85], v[80:81]
	v_fma_f64 v[127:128], v[30:31], s[6:7], v[34:35]
	v_fma_f64 v[123:124], v[30:31], s[8:9], v[34:35]
	v_add_f64 v[32:33], v[52:53], v[56:57]
	v_fma_f64 v[2:3], v[2:3], -0.5, v[50:51]
	v_add_f64 v[34:35], v[74:75], -v[46:47]
	v_add_f64 v[8:9], v[88:89], v[76:77]
	v_fma_f64 v[10:11], v[10:11], -0.5, v[48:49]
	v_add_f64 v[12:13], v[64:65], v[12:13]
	v_mul_f64 v[14:15], v[100:101], s[6:7]
	v_mul_f64 v[30:31], v[129:130], s[6:7]
	v_fma_f64 v[40:41], v[32:33], -0.5, v[60:61]
	v_fma_f64 v[64:65], v[16:17], s[8:9], v[2:3]
	v_fma_f64 v[76:77], v[16:17], s[6:7], v[2:3]
	v_add_f64 v[2:3], v[56:57], v[60:61]
	v_fma_f64 v[80:81], v[34:35], s[6:7], v[10:11]
	v_add_f64 v[16:17], v[72:73], v[48:49]
	;; [unrolled: 2-line block ×3, first 2 shown]
	v_fma_f64 v[14:15], v[127:128], 0.5, v[14:15]
	v_mul_f64 v[36:37], v[64:65], s[6:7]
	v_mul_f64 v[10:11], v[76:77], s[6:7]
	v_fma_f64 v[38:39], v[123:124], -0.5, v[30:31]
	v_fma_f64 v[60:61], v[42:43], s[6:7], v[40:41]
	v_add_f64 v[72:73], v[52:53], v[2:3]
	v_add_f64 v[16:17], v[44:45], v[16:17]
	v_fma_f64 v[40:41], v[42:43], s[8:9], v[40:41]
	s_mov_b32 s0, 0xaaaaaaab
	v_fma_f64 v[44:45], v[80:81], 0.5, v[36:37]
	v_fma_f64 v[42:43], v[48:49], -0.5, v[10:11]
	v_mul_hi_u32 v0, v1, s0
	v_add_f64 v[30:31], v[12:13], v[8:9]
	v_add_f64 v[32:33], v[4:5], v[14:15]
	v_add_f64 v[36:37], v[8:9], -v[12:13]
	v_lshrrev_b32_e32 v0, 1, v0
	v_lshl_add_u32 v0, v0, 1, v0
	v_add_f64 v[34:35], v[6:7], v[38:39]
	v_add_f64 v[2:3], v[4:5], -v[14:15]
	v_add_f64 v[4:5], v[6:7], -v[38:39]
	v_add_f64 v[6:7], v[16:17], v[72:73]
	v_add_f64 v[8:9], v[60:61], v[44:45]
	v_sub_u32_e32 v0, v1, v0
	v_add_f64 v[12:13], v[72:73], -v[16:17]
	v_add_f64 v[10:11], v[40:41], v[42:43]
	v_mul_u32_u24_e32 v0, 0x4a4, v0
	v_add_f64 v[14:15], v[60:61], -v[44:45]
	v_add_f64 v[16:17], v[40:41], -v[42:43]
	v_lshlrev_b32_e32 v136, 3, v0
	v_mul_u32_u24_e32 v0, 6, v120
	v_add_u32_e32 v1, 0, v136
	v_lshl_add_u32 v60, v0, 3, v1
	v_mul_i32_i24_e32 v0, 6, v134
	v_lshl_add_u32 v61, v0, 3, v1
	v_mul_i32_i24_e32 v0, 6, v132
	v_lshl_add_u32 v72, v0, 3, v1
	v_lshlrev_b32_e32 v0, 3, v120
	ds_write_b128 v60, v[18:21]
	ds_write_b128 v60, v[22:25] offset:16
	ds_write_b128 v60, v[26:29] offset:32
	ds_write_b128 v61, v[30:33]
	ds_write_b128 v61, v[34:37] offset:16
	v_add_u32_e32 v135, v1, v0
	v_add3_u32 v133, 0, v0, v136
	s_load_dwordx2 s[4:5], s[4:5], 0x0
	ds_write_b128 v61, v[2:5] offset:32
	ds_write_b128 v72, v[6:9]
	ds_write_b128 v72, v[10:13] offset:16
	ds_write_b128 v72, v[14:17] offset:32
	s_waitcnt lgkmcnt(0)
	s_barrier
	v_add_u32_e32 v73, 0x800, v133
	v_add_u32_e32 v138, 0x1000, v133
	;; [unrolled: 1-line block ×4, first 2 shown]
	ds_read_b64 v[92:93], v135
	ds_read2_b64 v[42:45], v133 offset0:108 offset1:216
	ds_read2_b64 v[38:41], v73 offset0:68 offset1:176
	;; [unrolled: 1-line block ×5, first 2 shown]
	v_cmp_gt_u32_e64 s[0:1], 42, v120
	v_lshlrev_b32_e32 v137, 3, v134
                                        ; implicit-def: $vgpr20_vgpr21
                                        ; implicit-def: $vgpr28_vgpr29
	s_and_saveexec_b64 s[14:15], s[0:1]
	s_cbranch_execz .LBB0_14
; %bb.13:
	v_add3_u32 v0, 0, v137, v136
	ds_read_b64 v[4:5], v0
	v_add_u32_e32 v0, 0x400, v133
	ds_read2_b64 v[6:9], v0 offset0:46 offset1:154
	ds_read2_b64 v[10:13], v73 offset0:134 offset1:242
	;; [unrolled: 1-line block ×3, first 2 shown]
	v_add_u32_e32 v0, 0x1800, v133
	ds_read2_b64 v[26:29], v0 offset0:54 offset1:162
	v_add_u32_e32 v0, 0x2000, v133
	ds_read2_b64 v[18:21], v0 offset0:14 offset1:122
.LBB0_14:
	s_or_b64 exec, exec, s[14:15]
	v_add_f64 v[0:1], v[98:99], v[114:115]
	v_add_f64 v[2:3], v[114:115], v[102:103]
	v_add_f64 v[84:85], v[112:113], -v[96:97]
	v_add_f64 v[96:97], v[110:111], v[106:107]
	v_mul_f64 v[106:107], v[125:126], s[8:9]
	v_mul_f64 v[108:109], v[108:109], -0.5
	v_add_f64 v[68:69], v[88:89], -v[68:69]
	v_add_f64 v[52:53], v[56:57], -v[52:53]
	v_fma_f64 v[0:1], v[0:1], -0.5, v[102:103]
	v_add_f64 v[102:103], v[90:91], v[78:79]
	v_add_f64 v[90:91], v[70:71], v[90:91]
	;; [unrolled: 1-line block ×4, first 2 shown]
	v_fma_f64 v[96:97], v[104:105], 0.5, v[106:107]
	v_add_f64 v[106:107], v[86:87], v[82:83]
	v_fma_f64 v[98:99], v[121:122], s[8:9], v[108:109]
	v_fma_f64 v[104:105], v[84:85], s[8:9], v[0:1]
	;; [unrolled: 1-line block ×3, first 2 shown]
	v_fma_f64 v[78:79], v[90:91], -0.5, v[78:79]
	v_add_f64 v[108:109], v[54:55], v[58:59]
	v_add_f64 v[82:83], v[94:95], v[2:3]
	v_add_f64 v[88:89], v[2:3], -v[94:95]
	v_add_f64 v[2:3], v[66:67], v[106:107]
	v_mul_f64 v[66:67], v[127:128], s[8:9]
	v_add_f64 v[84:85], v[104:105], v[96:97]
	v_add_f64 v[86:87], v[0:1], v[98:99]
	v_add_f64 v[94:95], v[104:105], -v[96:97]
	v_add_f64 v[96:97], v[0:1], -v[98:99]
	v_add_f64 v[0:1], v[70:71], v[102:103]
	v_fma_f64 v[70:71], v[68:69], s[8:9], v[78:79]
	v_fma_f64 v[78:79], v[68:69], s[6:7], v[78:79]
	v_mul_f64 v[68:69], v[129:130], -0.5
	v_add_f64 v[58:59], v[58:59], v[62:63]
	v_fma_f64 v[90:91], v[108:109], -0.5, v[62:63]
	v_add_f64 v[50:51], v[74:75], v[50:51]
	v_mul_f64 v[56:57], v[80:81], s[8:9]
	v_mul_f64 v[74:75], v[76:77], -0.5
	v_fma_f64 v[76:77], v[100:101], 0.5, v[66:67]
	v_add_f64 v[62:63], v[2:3], v[0:1]
	v_fma_f64 v[80:81], v[123:124], s[8:9], v[68:69]
	v_add_f64 v[54:55], v[54:55], v[58:59]
	v_fma_f64 v[58:59], v[52:53], s[8:9], v[90:91]
	v_fma_f64 v[90:91], v[52:53], s[6:7], v[90:91]
	v_add_f64 v[52:53], v[46:47], v[50:51]
	v_fma_f64 v[56:57], v[64:65], 0.5, v[56:57]
	v_fma_f64 v[74:75], v[48:49], s[8:9], v[74:75]
	v_add_f64 v[64:65], v[70:71], v[76:77]
	v_add_f64 v[66:67], v[78:79], v[80:81]
	v_add_f64 v[68:69], v[0:1], -v[2:3]
	v_add_f64 v[0:1], v[70:71], -v[76:77]
	;; [unrolled: 1-line block ×3, first 2 shown]
	v_add_f64 v[46:47], v[52:53], v[54:55]
	v_add_f64 v[48:49], v[58:59], v[56:57]
	;; [unrolled: 1-line block ×3, first 2 shown]
	v_add_f64 v[52:53], v[54:55], -v[52:53]
	v_add_f64 v[54:55], v[58:59], -v[56:57]
	;; [unrolled: 1-line block ×3, first 2 shown]
	s_waitcnt lgkmcnt(0)
	s_barrier
	ds_write_b128 v60, v[82:85]
	ds_write_b128 v60, v[86:89] offset:16
	ds_write_b128 v60, v[94:97] offset:32
	ds_write_b128 v61, v[62:65]
	ds_write_b128 v61, v[66:69] offset:16
	ds_write_b128 v61, v[0:3] offset:32
	;; [unrolled: 3-line block ×3, first 2 shown]
	s_waitcnt lgkmcnt(0)
	s_barrier
	ds_read_b64 v[0:1], v135
	ds_read2_b64 v[82:85], v133 offset0:108 offset1:216
	ds_read2_b64 v[78:81], v73 offset0:68 offset1:176
	;; [unrolled: 1-line block ×5, first 2 shown]
                                        ; implicit-def: $vgpr60_vgpr61
                                        ; implicit-def: $vgpr68_vgpr69
	s_and_saveexec_b64 s[6:7], s[0:1]
	s_cbranch_execz .LBB0_16
; %bb.15:
	v_add_u32_e32 v58, 0x1800, v133
	v_add3_u32 v2, 0, v137, v136
	v_add_u32_e32 v46, 0x400, v133
	v_add_u32_e32 v50, 0x800, v133
	;; [unrolled: 1-line block ×3, first 2 shown]
	ds_read2_b64 v[66:69], v58 offset0:54 offset1:162
	v_add_u32_e32 v58, 0x2000, v133
	ds_read_b64 v[2:3], v2
	ds_read2_b64 v[46:49], v46 offset0:46 offset1:154
	ds_read2_b64 v[50:53], v50 offset0:134 offset1:242
	;; [unrolled: 1-line block ×4, first 2 shown]
.LBB0_16:
	s_or_b64 exec, exec, s[6:7]
	s_movk_i32 s6, 0xab
	v_mul_lo_u16_sdwa v86, v120, s6 dst_sel:DWORD dst_unused:UNUSED_PAD src0_sel:BYTE_0 src1_sel:DWORD
	v_lshrrev_b16_e32 v112, 10, v86
	v_mul_lo_u16_e32 v86, 6, v112
	v_sub_u16_e32 v113, v120, v86
	v_mov_b32_e32 v90, 10
	v_mul_u32_u24_sdwa v86, v113, v90 dst_sel:DWORD dst_unused:UNUSED_PAD src0_sel:BYTE_0 src1_sel:DWORD
	v_lshlrev_b32_e32 v91, 4, v86
	global_load_dwordx4 v[86:89], v91, s[12:13]
	global_load_dwordx4 v[94:97], v91, s[12:13] offset:16
	global_load_dwordx4 v[100:103], v91, s[12:13] offset:32
	;; [unrolled: 1-line block ×7, first 2 shown]
	v_mul_lo_u16_sdwa v98, v134, s6 dst_sel:DWORD dst_unused:UNUSED_PAD src0_sel:BYTE_0 src1_sel:DWORD
	v_lshrrev_b16_e32 v110, 10, v98
	v_mul_lo_u16_e32 v98, 6, v110
	v_sub_u16_e32 v111, v134, v98
	v_mul_u32_u24_sdwa v90, v111, v90 dst_sel:DWORD dst_unused:UNUSED_PAD src0_sel:BYTE_0 src1_sel:DWORD
	v_lshlrev_b32_e32 v90, 4, v90
	global_load_dwordx4 v[146:149], v91, s[12:13] offset:144
	global_load_dwordx4 v[150:153], v91, s[12:13] offset:128
	global_load_dwordx4 v[154:157], v90, s[12:13]
	global_load_dwordx4 v[158:161], v90, s[12:13] offset:16
	global_load_dwordx4 v[162:165], v90, s[12:13] offset:32
	;; [unrolled: 1-line block ×9, first 2 shown]
	s_mov_b32 s6, 0xf8bb580b
	s_mov_b32 s7, 0xbfe14ced
	;; [unrolled: 1-line block ×28, first 2 shown]
	s_movk_i32 s33, 0x210
	s_waitcnt vmcnt(0) lgkmcnt(0)
	s_barrier
	v_mul_f64 v[90:91], v[82:83], v[88:89]
	v_mul_f64 v[98:99], v[84:85], v[96:97]
	;; [unrolled: 1-line block ×8, first 2 shown]
	v_fma_f64 v[106:107], v[42:43], v[86:87], v[90:91]
	v_mul_f64 v[123:124], v[34:35], v[123:124]
	v_mul_f64 v[204:205], v[72:73], v[140:141]
	v_fma_f64 v[102:103], v[44:45], v[94:95], v[98:99]
	v_fma_f64 v[96:97], v[84:85], v[94:95], -v[96:97]
	v_fma_f64 v[94:95], v[78:79], v[100:101], -v[129:130]
	v_fma_f64 v[78:79], v[34:35], v[121:122], v[198:199]
	v_mul_f64 v[88:89], v[42:43], v[88:89]
	v_add_f64 v[34:35], v[92:93], v[106:107]
	v_mul_f64 v[202:203], v[70:71], v[144:145]
	v_mul_f64 v[144:145], v[30:31], v[144:145]
	;; [unrolled: 1-line block ×4, first 2 shown]
	v_fma_f64 v[98:99], v[38:39], v[100:101], v[114:115]
	v_fma_f64 v[100:101], v[32:33], v[138:139], v[204:205]
	v_mul_f64 v[156:157], v[6:7], v[156:157]
	v_add_f64 v[32:33], v[34:35], v[102:103]
	v_fma_f64 v[108:109], v[82:83], v[86:87], -v[88:89]
	v_fma_f64 v[82:83], v[40:41], v[104:105], v[194:195]
	v_fma_f64 v[86:87], v[70:71], v[142:143], -v[144:145]
	v_fma_f64 v[70:71], v[6:7], v[154:155], v[210:211]
	v_mul_f64 v[200:201], v[76:77], v[127:128]
	v_mul_f64 v[206:207], v[62:63], v[152:153]
	;; [unrolled: 1-line block ×3, first 2 shown]
	v_add_f64 v[6:7], v[32:33], v[98:99]
	v_mul_f64 v[148:149], v[24:25], v[148:149]
	v_mul_f64 v[152:153], v[22:23], v[152:153]
	;; [unrolled: 1-line block ×3, first 2 shown]
	v_fma_f64 v[84:85], v[80:81], v[104:105], -v[196:197]
	v_fma_f64 v[80:81], v[74:75], v[121:122], -v[123:124]
	v_fma_f64 v[74:75], v[36:37], v[125:126], v[200:201]
	v_fma_f64 v[104:105], v[22:23], v[150:151], v[206:207]
	v_add_f64 v[6:7], v[6:7], v[82:83]
	v_fma_f64 v[22:23], v[64:65], v[146:147], -v[148:149]
	v_mul_f64 v[160:161], v[8:9], v[160:161]
	v_mul_f64 v[214:215], v[50:51], v[164:165]
	;; [unrolled: 1-line block ×4, first 2 shown]
	v_fma_f64 v[30:31], v[30:31], v[142:143], v[202:203]
	v_fma_f64 v[88:89], v[62:63], v[150:151], -v[152:153]
	v_add_f64 v[6:7], v[6:7], v[78:79]
	v_fma_f64 v[24:25], v[24:25], v[146:147], v[208:209]
	v_fma_f64 v[62:63], v[8:9], v[158:159], v[212:213]
	v_add_f64 v[8:9], v[108:109], -v[22:23]
	v_mul_f64 v[164:165], v[10:11], v[164:165]
	v_mul_f64 v[168:169], v[12:13], v[168:169]
	v_mul_f64 v[218:219], v[54:55], v[172:173]
	v_mul_f64 v[172:173], v[14:15], v[172:173]
	v_add_f64 v[6:7], v[6:7], v[74:75]
	v_mul_f64 v[176:177], v[16:17], v[176:177]
	v_mul_f64 v[222:223], v[66:67], v[180:181]
	;; [unrolled: 1-line block ×7, first 2 shown]
	v_fma_f64 v[64:65], v[48:49], v[158:159], -v[160:161]
	v_fma_f64 v[48:49], v[10:11], v[162:163], v[214:215]
	v_fma_f64 v[40:41], v[12:13], v[166:167], v[216:217]
	;; [unrolled: 1-line block ×3, first 2 shown]
	v_add_f64 v[10:11], v[106:107], v[24:25]
	v_add_f64 v[12:13], v[96:97], -v[88:89]
	v_mul_f64 v[16:17], v[8:9], s[6:7]
	v_add_f64 v[6:7], v[6:7], v[30:31]
	v_mul_f64 v[127:128], v[36:37], v[127:128]
	v_mul_f64 v[188:189], v[18:19], v[188:189]
	;; [unrolled: 1-line block ×3, first 2 shown]
	v_fma_f64 v[90:91], v[72:73], v[138:139], -v[140:141]
	v_fma_f64 v[72:73], v[46:47], v[154:155], -v[156:157]
	;; [unrolled: 1-line block ×3, first 2 shown]
	v_fma_f64 v[32:33], v[14:15], v[170:171], v[218:219]
	v_fma_f64 v[36:37], v[54:55], v[170:171], -v[172:173]
	v_fma_f64 v[42:43], v[26:27], v[178:179], v[222:223]
	v_fma_f64 v[46:47], v[66:67], v[178:179], -v[180:181]
	;; [unrolled: 2-line block ×3, first 2 shown]
	v_fma_f64 v[66:67], v[18:19], v[186:187], v[226:227]
	v_fma_f64 v[68:69], v[20:21], v[190:191], v[228:229]
	v_add_f64 v[14:15], v[102:103], v[104:105]
	v_mul_f64 v[18:19], v[8:9], s[8:9]
	v_mul_f64 v[20:21], v[8:9], s[14:15]
	;; [unrolled: 1-line block ×5, first 2 shown]
	v_fma_f64 v[114:115], v[10:11], s[16:17], v[16:17]
	v_fma_f64 v[16:17], v[10:11], s[16:17], -v[16:17]
	v_add_f64 v[6:7], v[6:7], v[100:101]
	v_fma_f64 v[76:77], v[76:77], v[125:126], -v[127:128]
	v_fma_f64 v[38:39], v[56:57], v[174:175], -v[176:177]
	;; [unrolled: 1-line block ×3, first 2 shown]
	v_mul_f64 v[60:61], v[12:13], s[22:23]
	v_fma_f64 v[121:122], v[10:11], s[18:19], v[18:19]
	v_fma_f64 v[18:19], v[10:11], s[18:19], -v[18:19]
	v_fma_f64 v[123:124], v[10:11], s[20:21], v[20:21]
	v_fma_f64 v[20:21], v[10:11], s[20:21], -v[20:21]
	;; [unrolled: 2-line block ×5, first 2 shown]
	v_add_f64 v[114:115], v[92:93], v[114:115]
	v_add_f64 v[16:17], v[92:93], v[16:17]
	;; [unrolled: 1-line block ×14, first 2 shown]
	v_fma_f64 v[16:17], v[14:15], s[24:25], v[60:61]
	v_fma_f64 v[28:29], v[14:15], s[24:25], -v[60:61]
	v_mul_f64 v[60:61], v[12:13], s[36:37]
	v_mul_f64 v[92:93], v[12:13], s[30:31]
	v_add_f64 v[114:115], v[94:95], -v[90:91]
	v_mul_f64 v[12:13], v[12:13], s[34:35]
	v_add_f64 v[140:141], v[98:99], v[100:101]
	v_fma_f64 v[50:51], v[50:51], v[162:163], -v[164:165]
	v_add_f64 v[16:17], v[16:17], v[121:122]
	v_add_f64 v[18:19], v[28:29], v[18:19]
	v_fma_f64 v[121:122], v[14:15], s[28:29], v[60:61]
	v_fma_f64 v[60:61], v[14:15], s[28:29], -v[60:61]
	v_fma_f64 v[138:139], v[14:15], s[20:21], v[92:93]
	v_fma_f64 v[92:93], v[14:15], s[20:21], -v[92:93]
	v_mul_f64 v[142:143], v[114:115], s[14:15]
	v_fma_f64 v[28:29], v[14:15], s[16:17], v[12:13]
	v_fma_f64 v[12:13], v[14:15], s[16:17], -v[12:13]
	v_fma_f64 v[58:59], v[58:59], v[186:187], -v[188:189]
	v_add_f64 v[121:122], v[121:122], v[123:124]
	v_add_f64 v[20:21], v[60:61], v[20:21]
	;; [unrolled: 1-line block ×4, first 2 shown]
	v_mul_f64 v[92:93], v[114:115], s[36:37]
	v_fma_f64 v[14:15], v[140:141], s[20:21], v[142:143]
	v_fma_f64 v[123:124], v[140:141], s[20:21], -v[142:143]
	v_mul_f64 v[125:126], v[114:115], s[38:39]
	v_add_f64 v[28:29], v[28:29], v[127:128]
	v_add_f64 v[6:7], v[12:13], v[6:7]
	v_add_f64 v[12:13], v[84:85], -v[86:87]
	v_fma_f64 v[127:128], v[140:141], s[28:29], v[92:93]
	v_fma_f64 v[92:93], v[140:141], s[28:29], -v[92:93]
	v_add_f64 v[8:9], v[14:15], v[8:9]
	v_add_f64 v[10:11], v[123:124], v[10:11]
	v_mul_f64 v[14:15], v[114:115], s[6:7]
	v_fma_f64 v[123:124], v[140:141], s[18:19], v[125:126]
	v_add_f64 v[16:17], v[127:128], v[16:17]
	v_add_f64 v[18:19], v[92:93], v[18:19]
	v_mul_f64 v[92:93], v[114:115], s[22:23]
	v_fma_f64 v[114:115], v[140:141], s[18:19], -v[125:126]
	v_add_f64 v[125:126], v[82:83], v[30:31]
	v_mul_f64 v[127:128], v[12:13], s[22:23]
	v_fma_f64 v[138:139], v[140:141], s[16:17], v[14:15]
	v_add_f64 v[121:122], v[123:124], v[121:122]
	v_fma_f64 v[14:15], v[140:141], s[16:17], -v[14:15]
	v_mul_f64 v[123:124], v[12:13], s[30:31]
	v_fma_f64 v[142:143], v[140:141], s[24:25], v[92:93]
	v_add_f64 v[20:21], v[114:115], v[20:21]
	v_fma_f64 v[92:93], v[140:141], s[24:25], -v[92:93]
	v_fma_f64 v[114:115], v[125:126], s[24:25], v[127:128]
	v_add_f64 v[60:61], v[138:139], v[60:61]
	v_mul_f64 v[138:139], v[12:13], s[6:7]
	v_add_f64 v[14:15], v[14:15], v[26:27]
	v_fma_f64 v[26:27], v[125:126], s[20:21], v[123:124]
	v_fma_f64 v[127:128], v[125:126], s[24:25], -v[127:128]
	v_add_f64 v[28:29], v[142:143], v[28:29]
	v_add_f64 v[6:7], v[92:93], v[6:7]
	;; [unrolled: 1-line block ×3, first 2 shown]
	v_mul_f64 v[92:93], v[12:13], s[26:27]
	v_add_f64 v[114:115], v[80:81], -v[76:77]
	v_mul_f64 v[12:13], v[12:13], s[38:39]
	v_add_f64 v[16:17], v[26:27], v[16:17]
	v_fma_f64 v[26:27], v[125:126], s[20:21], -v[123:124]
	v_fma_f64 v[123:124], v[125:126], s[16:17], v[138:139]
	v_add_f64 v[10:11], v[127:128], v[10:11]
	v_fma_f64 v[127:128], v[125:126], s[16:17], -v[138:139]
	v_fma_f64 v[138:139], v[125:126], s[28:29], v[92:93]
	v_add_f64 v[140:141], v[78:79], v[74:75]
	v_mul_f64 v[142:143], v[114:115], s[26:27]
	v_fma_f64 v[92:93], v[125:126], s[28:29], -v[92:93]
	v_add_f64 v[18:19], v[26:27], v[18:19]
	v_add_f64 v[26:27], v[123:124], v[121:122]
	v_fma_f64 v[121:122], v[125:126], s[18:19], v[12:13]
	v_fma_f64 v[12:13], v[125:126], s[18:19], -v[12:13]
	v_mul_f64 v[125:126], v[114:115], s[34:35]
	v_add_f64 v[20:21], v[127:128], v[20:21]
	v_fma_f64 v[123:124], v[140:141], s[28:29], v[142:143]
	v_add_f64 v[14:15], v[92:93], v[14:15]
	v_fma_f64 v[92:93], v[140:141], s[28:29], -v[142:143]
	v_add_f64 v[60:61], v[138:139], v[60:61]
	v_add_f64 v[28:29], v[121:122], v[28:29]
	v_mul_f64 v[121:122], v[114:115], s[22:23]
	v_add_f64 v[6:7], v[12:13], v[6:7]
	v_mul_f64 v[12:13], v[114:115], s[38:39]
	v_mul_f64 v[114:115], v[114:115], s[14:15]
	v_add_f64 v[8:9], v[123:124], v[8:9]
	v_add_f64 v[10:11], v[92:93], v[10:11]
	v_fma_f64 v[92:93], v[140:141], s[16:17], v[125:126]
	v_fma_f64 v[123:124], v[140:141], s[16:17], -v[125:126]
	v_fma_f64 v[125:126], v[140:141], s[24:25], v[121:122]
	v_fma_f64 v[121:122], v[140:141], s[24:25], -v[121:122]
	;; [unrolled: 2-line block ×4, first 2 shown]
	v_add_f64 v[16:17], v[92:93], v[16:17]
	v_add_f64 v[18:19], v[123:124], v[18:19]
	;; [unrolled: 1-line block ×8, first 2 shown]
	v_mov_b32_e32 v6, 3
	v_mad_u32_u24 v7, v112, s33, 0
	v_lshlrev_b32_sdwa v92, v6, v113 dst_sel:DWORD dst_unused:UNUSED_PAD src0_sel:DWORD src1_sel:BYTE_0
	v_add3_u32 v92, v7, v92, v136
	ds_write2_b64 v92, v[129:130], v[8:9] offset1:6
	ds_write2_b64 v92, v[16:17], v[26:27] offset0:12 offset1:18
	ds_write2_b64 v92, v[60:61], v[14:15] offset0:24 offset1:30
	;; [unrolled: 1-line block ×4, first 2 shown]
	ds_write_b64 v92, v[10:11] offset:480
	s_and_saveexec_b64 s[40:41], s[0:1]
	s_cbranch_execz .LBB0_18
; %bb.17:
	v_add_f64 v[7:8], v[72:73], -v[56:57]
	v_add_f64 v[19:20], v[64:65], -v[58:59]
	v_add_f64 v[26:27], v[70:71], v[68:69]
	v_add_f64 v[17:18], v[50:51], -v[54:55]
	v_add_f64 v[112:113], v[62:63], v[66:67]
	v_add_f64 v[15:16], v[44:45], -v[46:47]
	v_add_f64 v[60:61], v[48:49], v[52:53]
	v_add_f64 v[11:12], v[36:37], -v[38:39]
	v_mul_f64 v[28:29], v[7:8], s[26:27]
	v_mul_f64 v[114:115], v[7:8], s[22:23]
	;; [unrolled: 1-line block ×5, first 2 shown]
	v_add_f64 v[13:14], v[40:41], v[42:43]
	v_mul_f64 v[123:124], v[15:16], s[38:39]
	v_mul_f64 v[144:145], v[17:18], s[6:7]
	v_fma_f64 v[129:130], v[26:27], s[28:29], -v[28:29]
	v_fma_f64 v[28:29], v[26:27], s[28:29], v[28:29]
	v_fma_f64 v[140:141], v[26:27], s[24:25], -v[114:115]
	v_fma_f64 v[146:147], v[112:113], s[16:17], -v[125:126]
	v_fma_f64 v[125:126], v[112:113], s[16:17], v[125:126]
	v_fma_f64 v[148:149], v[112:113], s[20:21], -v[138:139]
	v_fma_f64 v[154:155], v[60:61], s[24:25], -v[127:128]
	v_fma_f64 v[127:128], v[60:61], s[24:25], v[127:128]
	v_add_f64 v[129:130], v[4:5], v[129:130]
	v_add_f64 v[28:29], v[4:5], v[28:29]
	;; [unrolled: 1-line block ×4, first 2 shown]
	v_mul_f64 v[121:122], v[11:12], s[14:15]
	v_mul_f64 v[150:151], v[15:16], s[26:27]
	v_fma_f64 v[156:157], v[13:14], s[18:19], -v[123:124]
	v_fma_f64 v[123:124], v[13:14], s[18:19], v[123:124]
	v_add_f64 v[129:130], v[146:147], v[129:130]
	v_add_f64 v[28:29], v[125:126], v[28:29]
	v_fma_f64 v[125:126], v[60:61], s[16:17], -v[144:145]
	v_add_f64 v[140:141], v[148:149], v[140:141]
	v_mul_f64 v[148:149], v[7:8], s[14:15]
	v_mul_f64 v[142:143], v[11:12], s[38:39]
	;; [unrolled: 1-line block ×3, first 2 shown]
	v_fma_f64 v[114:115], v[26:27], s[24:25], v[114:115]
	v_add_f64 v[129:130], v[154:155], v[129:130]
	v_add_f64 v[28:29], v[127:128], v[28:29]
	v_fma_f64 v[127:128], v[13:14], s[28:29], -v[150:151]
	v_add_f64 v[125:126], v[125:126], v[140:141]
	v_fma_f64 v[140:141], v[9:10], s[20:21], -v[121:122]
	v_fma_f64 v[121:122], v[9:10], s[20:21], v[121:122]
	v_fma_f64 v[154:155], v[26:27], s[20:21], -v[148:149]
	v_mul_f64 v[152:153], v[17:18], s[38:39]
	v_add_f64 v[129:130], v[156:157], v[129:130]
	v_add_f64 v[28:29], v[123:124], v[28:29]
	v_fma_f64 v[123:124], v[9:10], s[18:19], -v[142:143]
	v_add_f64 v[125:126], v[127:128], v[125:126]
	v_fma_f64 v[127:128], v[112:113], s[20:21], v[138:139]
	v_add_f64 v[114:115], v[4:5], v[114:115]
	v_fma_f64 v[138:139], v[112:113], s[28:29], -v[146:147]
	v_add_f64 v[154:155], v[4:5], v[154:155]
	v_add_f64 v[129:130], v[140:141], v[129:130]
	;; [unrolled: 1-line block ×3, first 2 shown]
	v_fma_f64 v[121:122], v[26:27], s[20:21], v[148:149]
	v_add_f64 v[123:124], v[123:124], v[125:126]
	v_fma_f64 v[125:126], v[60:61], s[16:17], v[144:145]
	v_add_f64 v[114:115], v[127:128], v[114:115]
	v_fma_f64 v[140:141], v[60:61], s[18:19], -v[152:153]
	v_add_f64 v[138:139], v[138:139], v[154:155]
	v_fma_f64 v[144:145], v[112:113], s[28:29], v[146:147]
	v_add_f64 v[148:149], v[4:5], v[70:71]
	v_add_f64 v[121:122], v[4:5], v[121:122]
	v_mul_f64 v[127:128], v[15:16], s[6:7]
	v_fma_f64 v[146:147], v[13:14], s[28:29], v[150:151]
	v_add_f64 v[114:115], v[125:126], v[114:115]
	v_mul_f64 v[156:157], v[17:18], s[36:37]
	v_add_f64 v[138:139], v[140:141], v[138:139]
	v_fma_f64 v[140:141], v[60:61], s[18:19], v[152:153]
	v_mul_f64 v[17:18], v[17:18], s[14:15]
	v_add_f64 v[121:122], v[144:145], v[121:122]
	v_add_f64 v[144:145], v[148:149], v[62:63]
	v_fma_f64 v[150:151], v[13:14], s[16:17], -v[127:128]
	v_add_f64 v[114:115], v[146:147], v[114:115]
	v_mul_f64 v[146:147], v[7:8], s[8:9]
	v_fma_f64 v[127:128], v[13:14], s[16:17], v[127:128]
	v_mul_f64 v[7:8], v[7:8], s[6:7]
	v_mul_f64 v[154:155], v[15:16], s[30:31]
	v_add_f64 v[121:122], v[140:141], v[121:122]
	v_add_f64 v[140:141], v[144:145], v[48:49]
	;; [unrolled: 1-line block ×3, first 2 shown]
	v_mul_f64 v[144:145], v[19:20], s[22:23]
	v_fma_f64 v[150:151], v[26:27], s[18:19], -v[146:147]
	v_mul_f64 v[19:20], v[19:20], s[8:9]
	v_fma_f64 v[164:165], v[26:27], s[16:17], v[7:8]
	v_fma_f64 v[146:147], v[26:27], s[18:19], v[146:147]
	v_add_f64 v[121:122], v[127:128], v[121:122]
	v_add_f64 v[127:128], v[140:141], v[40:41]
	v_fma_f64 v[7:8], v[26:27], s[16:17], -v[7:8]
	v_fma_f64 v[140:141], v[112:113], s[24:25], -v[144:145]
	v_add_f64 v[150:151], v[4:5], v[150:151]
	v_fma_f64 v[26:27], v[112:113], s[18:19], v[19:20]
	v_fma_f64 v[144:145], v[112:113], s[24:25], v[144:145]
	v_add_f64 v[146:147], v[4:5], v[146:147]
	v_fma_f64 v[19:20], v[112:113], s[18:19], -v[19:20]
	v_add_f64 v[127:128], v[127:128], v[32:33]
	v_fma_f64 v[162:163], v[60:61], s[28:29], -v[156:157]
	v_fma_f64 v[156:157], v[60:61], s[28:29], v[156:157]
	v_add_f64 v[140:141], v[140:141], v[150:151]
	v_add_f64 v[150:151], v[4:5], v[164:165]
	v_add_f64 v[4:5], v[4:5], v[7:8]
	v_mul_f64 v[7:8], v[15:16], s[22:23]
	v_fma_f64 v[15:16], v[60:61], s[20:21], v[17:18]
	v_add_f64 v[127:128], v[127:128], v[34:35]
	v_fma_f64 v[17:18], v[60:61], s[20:21], -v[17:18]
	v_mul_f64 v[125:126], v[11:12], s[22:23]
	v_mul_f64 v[152:153], v[11:12], s[34:35]
	v_add_f64 v[26:27], v[26:27], v[150:151]
	v_add_f64 v[4:5], v[19:20], v[4:5]
	v_mul_f64 v[11:12], v[11:12], s[26:27]
	v_fma_f64 v[19:20], v[13:14], s[24:25], v[7:8]
	v_add_f64 v[112:113], v[127:128], v[42:43]
	v_add_f64 v[127:128], v[144:145], v[146:147]
	v_fma_f64 v[144:145], v[13:14], s[20:21], v[154:155]
	v_fma_f64 v[160:161], v[13:14], s[20:21], -v[154:155]
	v_add_f64 v[15:16], v[15:16], v[26:27]
	v_fma_f64 v[7:8], v[13:14], s[24:25], -v[7:8]
	v_add_f64 v[4:5], v[17:18], v[4:5]
	v_fma_f64 v[17:18], v[9:10], s[28:29], v[11:12]
	v_add_f64 v[26:27], v[112:113], v[52:53]
	v_add_f64 v[60:61], v[156:157], v[127:128]
	;; [unrolled: 1-line block ×3, first 2 shown]
	v_fma_f64 v[148:149], v[9:10], s[24:25], -v[125:126]
	v_add_f64 v[15:16], v[19:20], v[15:16]
	v_fma_f64 v[125:126], v[9:10], s[24:25], v[125:126]
	v_fma_f64 v[13:14], v[9:10], s[16:17], v[152:153]
	;; [unrolled: 1-line block ×3, first 2 shown]
	v_add_f64 v[19:20], v[26:27], v[66:67]
	v_add_f64 v[26:27], v[144:145], v[60:61]
	v_fma_f64 v[158:159], v[9:10], s[16:17], -v[152:153]
	v_add_f64 v[60:61], v[160:161], v[112:113]
	v_fma_f64 v[9:10], v[9:10], s[28:29], -v[11:12]
	v_add_f64 v[4:5], v[7:8], v[4:5]
	v_add_f64 v[15:16], v[17:18], v[15:16]
	;; [unrolled: 1-line block ×9, first 2 shown]
	v_mad_u32_u24 v9, v110, s33, 0
	v_lshlrev_b32_sdwa v6, v6, v111 dst_sel:DWORD dst_unused:UNUSED_PAD src0_sel:DWORD src1_sel:BYTE_0
	v_add3_u32 v6, v9, v6, v136
	ds_write2_b64 v6, v[17:18], v[15:16] offset1:6
	ds_write2_b64 v6, v[13:14], v[11:12] offset0:12 offset1:18
	ds_write2_b64 v6, v[7:8], v[28:29] offset0:24 offset1:30
	;; [unrolled: 1-line block ×4, first 2 shown]
	ds_write_b64 v6, v[4:5] offset:480
.LBB0_18:
	s_or_b64 exec, exec, s[40:41]
	v_add_f64 v[4:5], v[0:1], v[108:109]
	v_add_f64 v[6:7], v[108:109], v[22:23]
	v_add_f64 v[8:9], v[106:107], -v[24:25]
	v_add_f64 v[10:11], v[96:97], v[88:89]
	s_mov_b32 s41, 0x3fe82f19
	s_mov_b32 s40, s22
	v_add_f64 v[12:13], v[102:103], -v[104:105]
	v_add_f64 v[14:15], v[94:95], v[90:91]
	v_add_f64 v[4:5], v[4:5], v[96:97]
	v_mul_f64 v[18:19], v[6:7], s[16:17]
	v_mul_f64 v[20:21], v[6:7], s[18:19]
	v_mul_f64 v[24:25], v[6:7], s[20:21]
	v_mul_f64 v[26:27], v[6:7], s[24:25]
	v_mul_f64 v[6:7], v[6:7], s[28:29]
	v_mul_f64 v[28:29], v[10:11], s[18:19]
	v_mul_f64 v[60:61], v[10:11], s[24:25]
	v_add_f64 v[4:5], v[4:5], v[94:95]
	v_mul_f64 v[93:94], v[10:11], s[28:29]
	v_mul_f64 v[95:96], v[10:11], s[20:21]
	;; [unrolled: 1-line block ×3, first 2 shown]
	v_fma_f64 v[103:104], v[8:9], s[34:35], v[18:19]
	v_fma_f64 v[18:19], v[8:9], s[6:7], v[18:19]
	;; [unrolled: 1-line block ×4, first 2 shown]
	v_add_f64 v[4:5], v[4:5], v[84:85]
	v_fma_f64 v[107:108], v[8:9], s[30:31], v[24:25]
	v_fma_f64 v[24:25], v[8:9], s[14:15], v[24:25]
	;; [unrolled: 1-line block ×6, first 2 shown]
	v_add_f64 v[16:17], v[98:99], -v[100:101]
	v_add_f64 v[4:5], v[4:5], v[80:81]
	v_mul_f64 v[97:98], v[14:15], s[20:21]
	v_fma_f64 v[8:9], v[12:13], s[38:39], v[28:29]
	v_fma_f64 v[127:128], v[12:13], s[6:7], v[10:11]
	;; [unrolled: 1-line block ×3, first 2 shown]
	v_add_f64 v[103:104], v[0:1], v[103:104]
	v_add_f64 v[18:19], v[0:1], v[18:19]
	;; [unrolled: 1-line block ×8, first 2 shown]
	v_mul_f64 v[99:100], v[14:15], s[28:29]
	v_mul_f64 v[101:102], v[14:15], s[18:19]
	v_fma_f64 v[28:29], v[12:13], s[8:9], v[28:29]
	v_add_f64 v[4:5], v[4:5], v[86:87]
	v_fma_f64 v[121:122], v[12:13], s[40:41], v[60:61]
	v_fma_f64 v[60:61], v[12:13], s[22:23], v[60:61]
	;; [unrolled: 1-line block ×7, first 2 shown]
	v_add_f64 v[4:5], v[4:5], v[90:91]
	v_add_f64 v[90:91], v[0:1], v[112:113]
	;; [unrolled: 1-line block ×10, first 2 shown]
	v_add_f64 v[30:31], v[82:83], -v[30:31]
	v_add_f64 v[0:1], v[10:11], v[0:1]
	v_add_f64 v[10:11], v[84:85], v[86:87]
	;; [unrolled: 1-line block ×3, first 2 shown]
	v_mul_f64 v[12:13], v[14:15], s[16:17]
	v_mul_f64 v[14:15], v[14:15], s[24:25]
	v_add_f64 v[90:91], v[4:5], v[22:23]
	v_fma_f64 v[4:5], v[16:17], s[36:37], v[99:100]
	v_fma_f64 v[22:23], v[16:17], s[8:9], v[101:102]
	;; [unrolled: 1-line block ×3, first 2 shown]
	v_mul_f64 v[82:83], v[10:11], s[24:25]
	v_fma_f64 v[129:130], v[16:17], s[26:27], v[99:100]
	v_add_f64 v[18:19], v[121:122], v[105:106]
	v_add_f64 v[24:25], v[93:94], v[24:25]
	;; [unrolled: 1-line block ×4, first 2 shown]
	v_fma_f64 v[20:21], v[16:17], s[38:39], v[101:102]
	v_fma_f64 v[84:85], v[16:17], s[34:35], v[12:13]
	v_add_f64 v[22:23], v[22:23], v[28:29]
	v_fma_f64 v[12:13], v[16:17], s[6:7], v[12:13]
	v_mul_f64 v[28:29], v[10:11], s[20:21]
	v_fma_f64 v[86:87], v[16:17], s[40:41], v[14:15]
	v_fma_f64 v[14:15], v[16:17], s[22:23], v[14:15]
	v_fma_f64 v[16:17], v[30:31], s[40:41], v[82:83]
	v_add_f64 v[18:19], v[129:130], v[18:19]
	v_add_f64 v[20:21], v[20:21], v[24:25]
	v_add_f64 v[24:25], v[84:85], v[60:61]
	v_add_f64 v[12:13], v[12:13], v[26:27]
	v_fma_f64 v[26:27], v[30:31], s[14:15], v[28:29]
	v_mul_f64 v[84:85], v[10:11], s[16:17]
	v_add_f64 v[8:9], v[97:98], v[8:9]
	v_add_f64 v[6:7], v[16:17], v[6:7]
	;; [unrolled: 1-line block ×3, first 2 shown]
	v_fma_f64 v[60:61], v[30:31], s[22:23], v[82:83]
	v_add_f64 v[74:75], v[78:79], -v[74:75]
	v_add_f64 v[0:1], v[14:15], v[0:1]
	v_add_f64 v[18:19], v[26:27], v[18:19]
	v_fma_f64 v[26:27], v[30:31], s[30:31], v[28:29]
	v_fma_f64 v[28:29], v[30:31], s[34:35], v[84:85]
	v_mul_f64 v[14:15], v[10:11], s[28:29]
	v_mul_f64 v[78:79], v[16:17], s[28:29]
	;; [unrolled: 1-line block ×3, first 2 shown]
	v_add_f64 v[88:89], v[127:128], v[112:113]
	v_add_f64 v[8:9], v[60:61], v[8:9]
	v_fma_f64 v[60:61], v[30:31], s[6:7], v[84:85]
	v_add_f64 v[4:5], v[26:27], v[4:5]
	v_add_f64 v[22:23], v[28:29], v[22:23]
	v_fma_f64 v[76:77], v[30:31], s[36:37], v[14:15]
	v_fma_f64 v[28:29], v[74:75], s[36:37], v[78:79]
	;; [unrolled: 1-line block ×5, first 2 shown]
	v_add_f64 v[82:83], v[86:87], v[88:89]
	v_add_f64 v[20:21], v[60:61], v[20:21]
	v_mul_f64 v[60:61], v[16:17], s[24:25]
	v_mul_f64 v[30:31], v[16:17], s[16:17]
	v_add_f64 v[87:88], v[28:29], v[6:7]
	v_mul_f64 v[6:7], v[16:17], s[20:21]
	v_add_f64 v[12:13], v[14:15], v[12:13]
	v_fma_f64 v[14:15], v[74:75], s[26:27], v[78:79]
	v_add_f64 v[0:1], v[10:11], v[0:1]
	v_mul_f64 v[10:11], v[16:17], s[18:19]
	v_fma_f64 v[16:17], v[74:75], s[40:41], v[60:61]
	v_fma_f64 v[28:29], v[74:75], s[22:23], v[60:61]
	v_add_f64 v[24:25], v[76:77], v[24:25]
	v_fma_f64 v[60:61], v[74:75], s[30:31], v[6:7]
	v_fma_f64 v[6:7], v[74:75], s[14:15], v[6:7]
	v_add_f64 v[93:94], v[14:15], v[8:9]
	v_fma_f64 v[8:9], v[74:75], s[6:7], v[30:31]
	v_add_f64 v[26:27], v[26:27], v[82:83]
	v_fma_f64 v[14:15], v[74:75], s[34:35], v[30:31]
	v_fma_f64 v[30:31], v[74:75], s[8:9], v[10:11]
	;; [unrolled: 1-line block ×3, first 2 shown]
	v_add_f64 v[99:100], v[16:17], v[22:23]
	v_add_f64 v[112:113], v[6:7], v[0:1]
	v_lshlrev_b32_e32 v0, 3, v132
	v_add_f64 v[95:96], v[8:9], v[18:19]
	v_add_u32_e32 v80, 0x1000, v133
	v_add3_u32 v79, 0, v0, v136
	v_add_u32_e32 v83, 0x1400, v133
	v_add_u32_e32 v82, 0x400, v133
	v_add_u32_e32 v84, 0x1800, v133
	v_add_u32_e32 v86, 0x800, v133
	v_add_u32_e32 v85, 0x1c00, v133
	v_add_u32_e32 v81, 0xc00, v133
	v_add_f64 v[97:98], v[14:15], v[4:5]
	v_add_f64 v[101:102], v[28:29], v[20:21]
	;; [unrolled: 1-line block ×5, first 2 shown]
	s_waitcnt lgkmcnt(0)
	s_barrier
	ds_read_b64 v[60:61], v135
	ds_read_b64 v[0:1], v79
	ds_read2_b64 v[20:23], v80 offset0:82 offset1:148
	v_add3_u32 v78, 0, v137, v136
	ds_read2_b64 v[24:27], v83 offset0:86 offset1:152
	ds_read2_b64 v[12:15], v82 offset0:70 offset1:136
	;; [unrolled: 1-line block ×6, first 2 shown]
	ds_read_b64 v[74:75], v78
	ds_read_b64 v[76:77], v133 offset:8976
	s_waitcnt lgkmcnt(0)
	s_barrier
	ds_write2_b64 v92, v[90:91], v[87:88] offset1:6
	ds_write2_b64 v92, v[95:96], v[99:100] offset0:12 offset1:18
	ds_write2_b64 v92, v[103:104], v[107:108] offset0:24 offset1:30
	;; [unrolled: 1-line block ×4, first 2 shown]
	ds_write_b64 v92, v[93:94] offset:480
	s_and_saveexec_b64 s[6:7], s[0:1]
	s_cbranch_execz .LBB0_20
; %bb.19:
	v_add_f64 v[87:88], v[2:3], v[72:73]
	v_add_f64 v[68:69], v[70:71], -v[68:69]
	v_add_f64 v[62:63], v[62:63], -v[66:67]
	v_add_f64 v[72:73], v[72:73], v[56:57]
	s_mov_b32 s14, 0x8764f0ba
	s_mov_b32 s15, 0x3feaeb8c
	s_mov_b32 s0, 0xf8bb580b
	s_mov_b32 s24, 0x640f44db
	v_add_f64 v[70:71], v[87:88], v[64:65]
	v_add_f64 v[64:65], v[64:65], v[58:59]
	s_mov_b32 s30, 0x7f775887
	s_mov_b32 s36, 0x9bcd5057
	;; [unrolled: 1-line block ×6, first 2 shown]
	v_add_f64 v[70:71], v[70:71], v[50:51]
	s_mov_b32 s9, 0xbfe14ced
	s_mov_b32 s8, s0
	v_mul_f64 v[87:88], v[72:73], s[18:19]
	v_mul_f64 v[89:90], v[72:73], s[24:25]
	;; [unrolled: 1-line block ×4, first 2 shown]
	s_mov_b32 s16, 0x8eee2c13
	v_add_f64 v[70:71], v[70:71], v[44:45]
	s_mov_b32 s22, 0x43842ef
	s_mov_b32 s40, 0xbb3a28a1
	;; [unrolled: 1-line block ×7, first 2 shown]
	v_add_f64 v[66:67], v[70:71], v[36:37]
	v_mul_f64 v[70:71], v[72:73], s[14:15]
	v_mul_f64 v[72:73], v[72:73], s[36:37]
	s_mov_b32 s29, 0xbfe82f19
	s_mov_b32 s35, 0x3fd207e7
	;; [unrolled: 1-line block ×5, first 2 shown]
	v_add_f64 v[66:67], v[66:67], v[38:39]
	v_fma_f64 v[99:100], v[68:69], s[0:1], v[70:71]
	v_fma_f64 v[70:71], v[68:69], s[8:9], v[70:71]
	s_mov_b32 s28, s40
	s_mov_b32 s38, s34
	v_mul_f64 v[95:96], v[64:65], s[30:31]
	v_fma_f64 v[101:102], v[68:69], s[16:17], v[87:88]
	v_fma_f64 v[87:88], v[68:69], s[20:21], v[87:88]
	v_add_f64 v[66:67], v[66:67], v[46:47]
	v_fma_f64 v[103:104], v[68:69], s[22:23], v[89:90]
	v_fma_f64 v[89:90], v[68:69], s[26:27], v[89:90]
	;; [unrolled: 1-line block ×7, first 2 shown]
	v_add_f64 v[66:67], v[66:67], v[54:55]
	v_add_f64 v[99:100], v[2:3], v[99:100]
	v_mul_f64 v[97:98], v[64:65], s[36:37]
	v_fma_f64 v[93:94], v[62:63], s[20:21], v[93:94]
	v_add_f64 v[70:71], v[2:3], v[70:71]
	v_add_f64 v[87:88], v[2:3], v[87:88]
	;; [unrolled: 1-line block ×10, first 2 shown]
	v_fma_f64 v[68:69], v[62:63], s[28:29], v[95:96]
	v_add_f64 v[70:71], v[93:94], v[70:71]
	v_add_f64 v[56:57], v[58:59], v[56:57]
	;; [unrolled: 1-line block ×3, first 2 shown]
	v_mul_f64 v[72:73], v[64:65], s[24:25]
	v_mul_f64 v[64:65], v[64:65], s[14:15]
	v_add_f64 v[50:51], v[50:51], v[54:55]
	v_fma_f64 v[93:94], v[62:63], s[34:35], v[97:98]
	v_fma_f64 v[112:113], v[62:63], s[40:41], v[95:96]
	v_add_f64 v[68:69], v[68:69], v[87:88]
	v_add_f64 v[48:49], v[48:49], -v[52:53]
	v_fma_f64 v[54:55], v[62:63], s[38:39], v[97:98]
	v_fma_f64 v[87:88], v[62:63], s[26:27], v[72:73]
	;; [unrolled: 1-line block ×4, first 2 shown]
	v_mul_f64 v[52:53], v[50:51], s[24:25]
	v_add_f64 v[89:90], v[93:94], v[89:90]
	v_mul_f64 v[93:94], v[50:51], s[36:37]
	v_fma_f64 v[62:63], v[62:63], s[0:1], v[64:65]
	v_add_f64 v[44:45], v[44:45], v[46:47]
	v_add_f64 v[66:67], v[112:113], v[66:67]
	;; [unrolled: 1-line block ×4, first 2 shown]
	v_mul_f64 v[95:96], v[50:51], s[18:19]
	v_fma_f64 v[64:65], v[48:49], s[22:23], v[52:53]
	v_fma_f64 v[97:98], v[48:49], s[38:39], v[93:94]
	;; [unrolled: 1-line block ×3, first 2 shown]
	v_add_f64 v[54:55], v[54:55], v[101:102]
	v_fma_f64 v[52:53], v[48:49], s[26:27], v[52:53]
	v_add_f64 v[2:3], v[62:63], v[2:3]
	v_mul_f64 v[46:47], v[50:51], s[14:15]
	v_fma_f64 v[62:63], v[48:49], s[20:21], v[95:96]
	v_mul_f64 v[50:51], v[50:51], s[30:31]
	v_add_f64 v[40:41], v[40:41], -v[42:43]
	v_mul_f64 v[42:43], v[44:45], s[30:31]
	v_add_f64 v[58:59], v[64:65], v[58:59]
	v_add_f64 v[64:65], v[97:98], v[66:67]
	;; [unrolled: 1-line block ×3, first 2 shown]
	v_fma_f64 v[68:69], v[48:49], s[16:17], v[95:96]
	v_add_f64 v[52:53], v[52:53], v[70:71]
	v_fma_f64 v[70:71], v[48:49], s[0:1], v[46:47]
	v_add_f64 v[54:55], v[62:63], v[54:55]
	v_fma_f64 v[46:47], v[48:49], s[8:9], v[46:47]
	v_mul_f64 v[62:63], v[44:45], s[24:25]
	v_fma_f64 v[93:94], v[48:49], s[40:41], v[50:51]
	v_fma_f64 v[48:49], v[48:49], s[28:29], v[50:51]
	;; [unrolled: 1-line block ×3, first 2 shown]
	v_add_f64 v[68:69], v[68:69], v[89:90]
	v_mul_f64 v[89:90], v[44:45], s[14:15]
	v_add_f64 v[87:88], v[87:88], v[103:104]
	v_fma_f64 v[42:43], v[40:41], s[28:29], v[42:43]
	v_add_f64 v[46:47], v[46:47], v[72:73]
	v_fma_f64 v[72:73], v[40:41], s[26:27], v[62:63]
	v_add_f64 v[2:3], v[48:49], v[2:3]
	v_add_f64 v[48:49], v[50:51], v[58:59]
	v_mul_f64 v[50:51], v[44:45], s[36:37]
	v_add_f64 v[36:37], v[36:37], v[38:39]
	v_fma_f64 v[58:59], v[40:41], s[0:1], v[89:90]
	v_mul_f64 v[44:45], v[44:45], s[18:19]
	v_add_f64 v[70:71], v[70:71], v[87:88]
	v_add_f64 v[42:43], v[42:43], v[52:53]
	;; [unrolled: 1-line block ×3, first 2 shown]
	v_fma_f64 v[52:53], v[40:41], s[22:23], v[62:63]
	v_fma_f64 v[64:65], v[40:41], s[34:35], v[50:51]
	v_add_f64 v[32:33], v[32:33], -v[34:35]
	v_mul_f64 v[34:35], v[36:37], s[36:37]
	v_fma_f64 v[50:51], v[40:41], s[38:39], v[50:51]
	v_fma_f64 v[62:63], v[40:41], s[8:9], v[89:90]
	v_add_f64 v[54:55], v[58:59], v[54:55]
	v_fma_f64 v[58:59], v[40:41], s[20:21], v[44:45]
	v_fma_f64 v[40:41], v[40:41], s[16:17], v[44:45]
	v_add_f64 v[52:53], v[52:53], v[66:67]
	v_add_f64 v[44:45], v[64:65], v[70:71]
	v_fma_f64 v[64:65], v[32:33], s[34:35], v[34:35]
	v_add_f64 v[46:47], v[50:51], v[46:47]
	v_fma_f64 v[34:35], v[32:33], s[38:39], v[34:35]
	v_mul_f64 v[50:51], v[36:37], s[14:15]
	v_mul_f64 v[66:67], v[36:37], s[30:31]
	v_add_f64 v[87:88], v[93:94], v[91:92]
	v_add_f64 v[2:3], v[40:41], v[2:3]
	v_mul_f64 v[40:41], v[36:37], s[18:19]
	v_mul_f64 v[36:37], v[36:37], s[24:25]
	v_add_f64 v[48:49], v[64:65], v[48:49]
	v_add_f64 v[34:35], v[34:35], v[42:43]
	v_fma_f64 v[42:43], v[32:33], s[8:9], v[50:51]
	v_fma_f64 v[64:65], v[32:33], s[40:41], v[66:67]
	v_add_f64 v[62:63], v[62:63], v[68:69]
	v_add_f64 v[58:59], v[58:59], v[87:88]
	v_fma_f64 v[68:69], v[32:33], s[20:21], v[40:41]
	v_fma_f64 v[40:41], v[32:33], s[16:17], v[40:41]
	;; [unrolled: 1-line block ×6, first 2 shown]
	v_add_f64 v[36:37], v[42:43], v[38:39]
	v_add_f64 v[42:43], v[64:65], v[54:55]
	;; [unrolled: 1-line block ×8, first 2 shown]
	s_movk_i32 s0, 0x210
	v_mov_b32_e32 v33, 3
	v_mad_u32_u24 v32, v110, s0, 0
	v_lshlrev_b32_sdwa v33, v33, v111 dst_sel:DWORD dst_unused:UNUSED_PAD src0_sel:DWORD src1_sel:BYTE_0
	v_add3_u32 v32, v32, v33, v136
	ds_write2_b64 v32, v[56:57], v[48:49] offset1:6
	ds_write2_b64 v32, v[36:37], v[42:43] offset0:12 offset1:18
	ds_write2_b64 v32, v[44:45], v[46:47] offset0:24 offset1:30
	;; [unrolled: 1-line block ×4, first 2 shown]
	ds_write_b64 v32, v[34:35] offset:480
.LBB0_20:
	s_or_b64 exec, exec, s[6:7]
	v_mov_b32_e32 v121, 0
	v_lshlrev_b64 v[2:3], 4, v[120:121]
	v_mov_b32_e32 v115, s13
	v_add_co_u32_e64 v2, s[0:1], s12, v2
	v_addc_co_u32_e64 v3, s[0:1], v115, v3, s[0:1]
	s_movk_i32 s0, 0xf9
	v_mul_lo_u16_sdwa v32, v132, s0 dst_sel:DWORD dst_unused:UNUSED_PAD src0_sel:BYTE_0 src1_sel:DWORD
	v_lshrrev_b16_e32 v32, 14, v32
	v_mul_lo_u16_e32 v32, 0x42, v32
	v_add_u32_e32 v46, 0xc6, v120
	v_sub_u16_e32 v130, v132, v32
	v_mov_b32_e32 v32, 4
	s_mov_b32 s0, 0xf83f
	v_add_u32_e32 v47, 0x108, v120
	s_waitcnt lgkmcnt(0)
	s_barrier
	v_lshlrev_b32_sdwa v40, v32, v130 dst_sel:DWORD dst_unused:UNUSED_PAD src0_sel:DWORD src1_sel:BYTE_0
	global_load_dwordx4 v[32:35], v[2:3], off offset:960
	global_load_dwordx4 v[36:39], v40, s[12:13] offset:960
	v_mul_u32_u24_sdwa v2, v46, s0 dst_sel:DWORD dst_unused:UNUSED_PAD src0_sel:WORD_0 src1_sel:DWORD
	v_lshrrev_b32_e32 v2, 22, v2
	v_mul_u32_u24_sdwa v146, v47, s0 dst_sel:DWORD dst_unused:UNUSED_PAD src0_sel:WORD_0 src1_sel:DWORD
	v_mul_lo_u16_e32 v2, 0x42, v2
	v_lshrrev_b32_e32 v3, 22, v146
	v_add_u32_e32 v48, 0x14a, v120
	v_sub_u16_e32 v145, v46, v2
	v_mul_lo_u16_e32 v3, 0x42, v3
	v_lshlrev_b32_e32 v2, 4, v145
	v_sub_u16_e32 v147, v47, v3
	v_mul_u32_u24_sdwa v148, v48, s0 dst_sel:DWORD dst_unused:UNUSED_PAD src0_sel:WORD_0 src1_sel:DWORD
	v_lshlrev_b32_e32 v3, 4, v147
	global_load_dwordx4 v[40:43], v2, s[12:13] offset:960
	global_load_dwordx4 v[49:52], v3, s[12:13] offset:960
	v_lshrrev_b32_e32 v2, 22, v148
	v_mul_lo_u16_e32 v2, 0x42, v2
	v_sub_u16_e32 v149, v48, v2
	v_add_u32_e32 v44, 0x18c, v120
	v_lshlrev_b32_e32 v2, 4, v149
	global_load_dwordx4 v[53:56], v2, s[12:13] offset:960
	v_mul_u32_u24_sdwa v2, v44, s0 dst_sel:DWORD dst_unused:UNUSED_PAD src0_sel:WORD_0 src1_sel:DWORD
	v_lshrrev_b32_e32 v2, 22, v2
	v_mul_lo_u16_e32 v2, 0x42, v2
	v_sub_u16_e32 v150, v44, v2
	v_add_u32_e32 v45, 0x1ce, v120
	v_lshlrev_b32_e32 v2, 4, v150
	v_add_u32_e32 v57, 0x210, v120
	global_load_dwordx4 v[62:65], v2, s[12:13] offset:960
	v_mul_u32_u24_sdwa v2, v45, s0 dst_sel:DWORD dst_unused:UNUSED_PAD src0_sel:WORD_0 src1_sel:DWORD
	v_lshrrev_b32_e32 v2, 22, v2
	v_mul_u32_u24_sdwa v3, v57, s0 dst_sel:DWORD dst_unused:UNUSED_PAD src0_sel:WORD_0 src1_sel:DWORD
	v_mul_lo_u16_e32 v2, 0x42, v2
	v_lshrrev_b32_e32 v3, 22, v3
	v_sub_u16_e32 v151, v45, v2
	v_mul_lo_u16_e32 v3, 0x42, v3
	v_lshlrev_b32_e32 v2, 4, v151
	v_sub_u16_e32 v152, v57, v3
	global_load_dwordx4 v[66:69], v2, s[12:13] offset:960
	v_lshlrev_b32_e32 v2, 4, v152
	global_load_dwordx4 v[70:73], v2, s[12:13] offset:960
	ds_read_b64 v[2:3], v135
	ds_read2_b64 v[87:90], v80 offset0:82 offset1:148
	ds_read_b64 v[44:45], v79
	ds_read2_b64 v[91:94], v83 offset0:86 offset1:152
	ds_read2_b64 v[95:98], v82 offset0:70 offset1:136
	;; [unrolled: 1-line block ×6, first 2 shown]
	ds_read_b64 v[57:58], v78
	ds_read_b64 v[122:123], v133 offset:8976
	s_waitcnt vmcnt(0) lgkmcnt(0)
	s_barrier
	v_lshlrev_b32_e32 v120, 1, v120
	s_mov_b32 s7, 0x3febb67a
	v_mul_f64 v[124:125], v[87:88], v[34:35]
	v_mul_f64 v[126:127], v[20:21], v[34:35]
	;; [unrolled: 1-line block ×6, first 2 shown]
	v_fma_f64 v[20:21], v[20:21], v[32:33], v[124:125]
	v_fma_f64 v[87:88], v[87:88], v[32:33], -v[126:127]
	v_fma_f64 v[22:23], v[22:23], v[32:33], v[128:129]
	v_fma_f64 v[32:33], v[89:90], v[32:33], -v[34:35]
	v_fma_f64 v[24:25], v[24:25], v[36:37], v[137:138]
	v_mul_f64 v[139:140], v[93:94], v[42:43]
	v_mul_f64 v[42:43], v[26:27], v[42:43]
	;; [unrolled: 1-line block ×4, first 2 shown]
	v_fma_f64 v[34:35], v[91:92], v[36:37], -v[38:39]
	v_add_f64 v[20:21], v[60:61], -v[20:21]
	v_add_f64 v[32:33], v[57:58], -v[32:33]
	v_mul_f64 v[143:144], v[101:102], v[55:56]
	v_mul_f64 v[55:56], v[30:31], v[55:56]
	v_fma_f64 v[26:27], v[26:27], v[40:41], v[139:140]
	v_fma_f64 v[36:37], v[93:94], v[40:41], -v[42:43]
	v_fma_f64 v[38:39], v[99:100], v[49:50], -v[51:52]
	v_fma_f64 v[28:29], v[28:29], v[49:50], v[141:142]
	v_add_f64 v[34:35], v[44:45], -v[34:35]
	v_fma_f64 v[57:58], v[57:58], 2.0, -v[32:33]
	v_fma_f64 v[30:31], v[30:31], v[53:54], v[143:144]
	v_fma_f64 v[40:41], v[101:102], v[53:54], -v[55:56]
	v_mul_f64 v[42:43], v[107:108], v[64:65]
	v_mul_f64 v[49:50], v[16:17], v[64:65]
	v_add_f64 v[36:37], v[95:96], -v[36:37]
	v_add_f64 v[38:39], v[97:98], -v[38:39]
	v_fma_f64 v[44:45], v[44:45], 2.0, -v[34:35]
	v_add_f64 v[30:31], v[4:5], -v[30:31]
	v_add_f64 v[40:41], v[103:104], -v[40:41]
	v_mul_f64 v[51:52], v[109:110], v[68:69]
	v_mul_f64 v[53:54], v[18:19], v[68:69]
	;; [unrolled: 1-line block ×3, first 2 shown]
	v_add_f64 v[68:69], v[2:3], -v[87:88]
	v_mul_f64 v[64:65], v[76:77], v[72:73]
	v_fma_f64 v[16:17], v[16:17], v[62:63], v[42:43]
	v_fma_f64 v[42:43], v[107:108], v[62:63], -v[49:50]
	v_fma_f64 v[4:5], v[4:5], 2.0, -v[30:31]
	v_fma_f64 v[18:19], v[18:19], v[66:67], v[51:52]
	v_fma_f64 v[49:50], v[109:110], v[66:67], -v[53:54]
	v_fma_f64 v[51:52], v[76:77], v[70:71], v[55:56]
	v_fma_f64 v[55:56], v[60:61], 2.0, -v[20:21]
	v_fma_f64 v[59:60], v[2:3], 2.0, -v[68:69]
	v_add_f64 v[2:3], v[74:75], -v[22:23]
	v_add_f64 v[22:23], v[0:1], -v[24:25]
	;; [unrolled: 1-line block ×5, first 2 shown]
	v_fma_f64 v[53:54], v[122:123], v[70:71], -v[64:65]
	v_add_f64 v[16:17], v[6:7], -v[16:17]
	v_add_f64 v[51:52], v[10:11], -v[51:52]
	v_fma_f64 v[28:29], v[74:75], 2.0, -v[2:3]
	v_fma_f64 v[0:1], v[0:1], 2.0, -v[22:23]
	ds_write2_b64 v133, v[55:56], v[20:21] offset1:66
	ds_write2_b64 v133, v[28:29], v[2:3] offset0:132 offset1:198
	v_mov_b32_e32 v2, 3
	v_lshlrev_b32_sdwa v2, v2, v130 dst_sel:DWORD dst_unused:UNUSED_PAD src0_sel:DWORD src1_sel:BYTE_0
	v_add3_u32 v2, 0, v2, v136
	v_add_u32_e32 v55, 0x800, v2
	ds_write2_b64 v55, v[0:1], v[22:23] offset0:8 offset1:74
	v_lshlrev_b32_e32 v0, 3, v145
	v_add3_u32 v0, 0, v0, v136
	v_add_u32_e32 v56, 0x800, v0
	v_lshlrev_b32_e32 v0, 3, v147
	v_add_f64 v[42:43], v[105:106], -v[42:43]
	v_add3_u32 v0, 0, v0, v136
	v_add_f64 v[49:50], v[111:112], -v[49:50]
	v_fma_f64 v[8:9], v[8:9], 2.0, -v[18:19]
	v_add_u32_e32 v67, 0x1000, v0
	v_lshlrev_b32_e32 v0, 3, v149
	v_fma_f64 v[12:13], v[12:13], 2.0, -v[24:25]
	v_fma_f64 v[14:15], v[14:15], 2.0, -v[26:27]
	v_add_f64 v[53:54], v[113:114], -v[53:54]
	v_fma_f64 v[6:7], v[6:7], 2.0, -v[16:17]
	v_fma_f64 v[10:11], v[10:11], 2.0, -v[51:52]
	v_add3_u32 v0, 0, v0, v136
	v_add_u32_e32 v76, 0x1000, v0
	v_lshlrev_b32_e32 v0, 3, v150
	v_add3_u32 v0, 0, v0, v136
	v_fma_f64 v[61:62], v[95:96], 2.0, -v[36:37]
	v_add_u32_e32 v77, 0x1800, v0
	v_lshlrev_b32_e32 v0, 3, v151
	v_fma_f64 v[63:64], v[97:98], 2.0, -v[38:39]
	v_add3_u32 v0, 0, v0, v136
	v_fma_f64 v[65:66], v[103:104], 2.0, -v[40:41]
	v_add_u32_e32 v87, 0x1800, v0
	v_lshlrev_b32_e32 v0, 3, v152
	v_fma_f64 v[70:71], v[105:106], 2.0, -v[42:43]
	v_add3_u32 v0, 0, v0, v136
	v_fma_f64 v[72:73], v[111:112], 2.0, -v[49:50]
	ds_write2_b64 v87, v[8:9], v[18:19] offset0:156 offset1:222
	v_add_u32_e32 v8, 0x2000, v0
	v_fma_f64 v[74:75], v[113:114], 2.0, -v[53:54]
	ds_write2_b64 v56, v[12:13], v[24:25] offset0:140 offset1:206
	ds_write2_b64 v67, v[14:15], v[26:27] offset0:16 offset1:82
	;; [unrolled: 1-line block ×5, first 2 shown]
	s_waitcnt lgkmcnt(0)
	s_barrier
	ds_read_b64 v[107:108], v135
	ds_read2_b64 v[0:3], v86 offset0:74 offset1:140
	ds_read2_b64 v[4:7], v83 offset0:86 offset1:152
	;; [unrolled: 1-line block ×4, first 2 shown]
	ds_read_b64 v[109:110], v79
	ds_read2_b64 v[20:23], v82 offset0:70 offset1:136
	ds_read2_b64 v[24:27], v80 offset0:82 offset1:148
	;; [unrolled: 1-line block ×3, first 2 shown]
	ds_read_b64 v[111:112], v78
	ds_read_b64 v[113:114], v133 offset:8976
	s_waitcnt lgkmcnt(0)
	s_barrier
	ds_write2_b64 v133, v[59:60], v[68:69] offset1:66
	ds_write2_b64 v133, v[57:58], v[32:33] offset0:132 offset1:198
	ds_write2_b64 v55, v[44:45], v[34:35] offset0:8 offset1:74
	;; [unrolled: 1-line block ×8, first 2 shown]
	v_lshlrev_b64 v[8:9], 4, v[120:121]
	s_waitcnt lgkmcnt(0)
	v_add_co_u32_e64 v8, s[0:1], s12, v8
	v_addc_co_u32_e64 v9, s[0:1], v115, v9, s[0:1]
	s_barrier
	global_load_dwordx4 v[32:35], v[8:9], off offset:2016
	global_load_dwordx4 v[36:39], v[8:9], off offset:2032
	v_lshlrev_b32_e32 v120, 1, v134
	v_lshlrev_b64 v[10:11], 4, v[120:121]
	v_lshrrev_b32_e32 v44, 23, v146
	v_add_co_u32_e64 v10, s[0:1], s12, v10
	v_addc_co_u32_e64 v11, s[0:1], v115, v11, s[0:1]
	global_load_dwordx4 v[40:43], v[10:11], off offset:2016
	global_load_dwordx4 v[49:52], v[10:11], off offset:2032
	v_mul_lo_u16_e32 v44, 0x84, v44
	v_sub_u16_e32 v77, v47, v44
	v_lshlrev_b32_e32 v44, 5, v77
	global_load_dwordx4 v[53:56], v44, s[12:13] offset:2016
	global_load_dwordx4 v[57:60], v44, s[12:13] offset:2032
	v_lshrrev_b32_e32 v44, 23, v148
	v_mul_lo_u16_e32 v44, 0x84, v44
	v_sub_u16_e32 v115, v48, v44
	v_lshlrev_b32_e32 v44, 5, v115
	global_load_dwordx4 v[61:64], v44, s[12:13] offset:2016
	global_load_dwordx4 v[65:68], v44, s[12:13] offset:2032
	ds_read_b64 v[44:45], v135
	ds_read2_b64 v[69:72], v86 offset0:74 offset1:140
	ds_read2_b64 v[73:76], v83 offset0:86 offset1:152
	;; [unrolled: 1-line block ×4, first 2 shown]
	ds_read_b64 v[122:123], v79
	ds_read2_b64 v[95:98], v82 offset0:70 offset1:136
	ds_read2_b64 v[99:102], v80 offset0:82 offset1:148
	;; [unrolled: 1-line block ×3, first 2 shown]
	ds_read_b64 v[137:138], v78
	ds_read_b64 v[139:140], v133 offset:8976
	s_mov_b32 s0, 0xe8584caa
	s_mov_b32 s1, 0xbfebb67a
	;; [unrolled: 1-line block ×3, first 2 shown]
	s_waitcnt vmcnt(0) lgkmcnt(0)
	s_barrier
	v_mul_f64 v[124:125], v[71:72], v[34:35]
	v_mul_f64 v[126:127], v[2:3], v[34:35]
	;; [unrolled: 1-line block ×5, first 2 shown]
	v_fma_f64 v[2:3], v[2:3], v[32:33], v[124:125]
	v_mul_f64 v[124:125], v[6:7], v[38:39]
	v_fma_f64 v[71:72], v[71:72], v[32:33], -v[126:127]
	v_mul_f64 v[126:127], v[87:88], v[42:43]
	v_mul_f64 v[141:142], v[12:13], v[42:43]
	v_fma_f64 v[14:15], v[14:15], v[32:33], v[145:146]
	v_fma_f64 v[32:33], v[89:90], v[32:33], -v[34:35]
	v_mul_f64 v[34:35], v[99:100], v[42:43]
	v_mul_f64 v[42:43], v[24:25], v[42:43]
	v_fma_f64 v[75:76], v[75:76], v[36:37], -v[124:125]
	v_mul_f64 v[124:125], v[93:94], v[38:39]
	v_mul_f64 v[38:39], v[18:19], v[38:39]
	v_fma_f64 v[6:7], v[6:7], v[36:37], v[128:129]
	v_mul_f64 v[128:129], v[91:92], v[51:52]
	v_mul_f64 v[143:144], v[16:17], v[51:52]
	v_fma_f64 v[12:13], v[12:13], v[40:41], v[126:127]
	v_fma_f64 v[87:88], v[87:88], v[40:41], -v[141:142]
	v_mul_f64 v[89:90], v[103:104], v[51:52]
	v_fma_f64 v[18:19], v[18:19], v[36:37], v[124:125]
	v_mul_f64 v[51:52], v[28:29], v[51:52]
	v_mul_f64 v[124:125], v[101:102], v[55:56]
	v_fma_f64 v[36:37], v[93:94], v[36:37], -v[38:39]
	v_mul_f64 v[38:39], v[26:27], v[55:56]
	v_fma_f64 v[24:25], v[24:25], v[40:41], v[34:35]
	v_fma_f64 v[34:35], v[99:100], v[40:41], -v[42:43]
	v_mul_f64 v[40:41], v[105:106], v[59:60]
	v_fma_f64 v[16:17], v[16:17], v[49:50], v[128:129]
	v_fma_f64 v[91:92], v[91:92], v[49:50], -v[143:144]
	v_fma_f64 v[28:29], v[28:29], v[49:50], v[89:90]
	v_fma_f64 v[42:43], v[103:104], v[49:50], -v[51:52]
	v_fma_f64 v[26:27], v[26:27], v[53:54], v[124:125]
	v_mul_f64 v[49:50], v[30:31], v[59:60]
	v_fma_f64 v[38:39], v[101:102], v[53:54], -v[38:39]
	v_mul_f64 v[51:52], v[73:74], v[63:64]
	v_add_f64 v[53:54], v[2:3], v[6:7]
	v_fma_f64 v[30:31], v[30:31], v[57:58], v[40:41]
	v_mul_f64 v[40:41], v[4:5], v[63:64]
	v_mul_f64 v[55:56], v[139:140], v[67:68]
	;; [unrolled: 1-line block ×3, first 2 shown]
	v_fma_f64 v[49:50], v[105:106], v[57:58], -v[49:50]
	v_add_f64 v[57:58], v[107:108], v[2:3]
	v_fma_f64 v[4:5], v[4:5], v[61:62], v[51:52]
	v_fma_f64 v[51:52], v[53:54], -0.5, v[107:108]
	v_add_f64 v[53:54], v[71:72], -v[75:76]
	v_fma_f64 v[40:41], v[73:74], v[61:62], -v[40:41]
	v_add_f64 v[61:62], v[71:72], v[75:76]
	v_fma_f64 v[55:56], v[113:114], v[65:66], v[55:56]
	v_fma_f64 v[59:60], v[139:140], v[65:66], -v[59:60]
	v_add_f64 v[57:58], v[57:58], v[6:7]
	v_add_f64 v[65:66], v[44:45], v[71:72]
	;; [unrolled: 1-line block ×3, first 2 shown]
	v_fma_f64 v[63:64], v[53:54], s[0:1], v[51:52]
	v_add_f64 v[2:3], v[2:3], -v[6:7]
	v_fma_f64 v[44:45], v[61:62], -0.5, v[44:45]
	v_fma_f64 v[6:7], v[53:54], s[6:7], v[51:52]
	v_add_f64 v[51:52], v[111:112], v[12:13]
	v_add_f64 v[61:62], v[87:88], v[91:92]
	;; [unrolled: 1-line block ×3, first 2 shown]
	v_fma_f64 v[65:66], v[67:68], -0.5, v[111:112]
	v_add_f64 v[67:68], v[87:88], -v[91:92]
	v_add_f64 v[12:13], v[12:13], -v[16:17]
	v_fma_f64 v[71:72], v[2:3], s[6:7], v[44:45]
	v_fma_f64 v[73:74], v[2:3], s[0:1], v[44:45]
	v_add_f64 v[2:3], v[137:138], v[87:88]
	v_add_f64 v[44:45], v[51:52], v[16:17]
	;; [unrolled: 1-line block ×3, first 2 shown]
	v_fma_f64 v[61:62], v[61:62], -0.5, v[137:138]
	v_fma_f64 v[16:17], v[67:68], s[0:1], v[65:66]
	v_fma_f64 v[65:66], v[67:68], s[6:7], v[65:66]
	v_add_f64 v[67:68], v[109:110], v[14:15]
	v_add_f64 v[87:88], v[32:33], -v[36:37]
	v_add_f64 v[75:76], v[2:3], v[91:92]
	v_add_f64 v[2:3], v[32:33], v[36:37]
	v_fma_f64 v[51:52], v[51:52], -0.5, v[109:110]
	v_add_f64 v[32:33], v[122:123], v[32:33]
	v_fma_f64 v[89:90], v[12:13], s[6:7], v[61:62]
	v_fma_f64 v[61:62], v[12:13], s[0:1], v[61:62]
	v_add_f64 v[12:13], v[67:68], v[18:19]
	v_add_f64 v[67:68], v[24:25], v[28:29]
	v_add_f64 v[14:15], v[14:15], -v[18:19]
	v_fma_f64 v[2:3], v[2:3], -0.5, v[122:123]
	v_fma_f64 v[18:19], v[87:88], s[0:1], v[51:52]
	v_fma_f64 v[51:52], v[87:88], s[6:7], v[51:52]
	v_add_f64 v[87:88], v[32:33], v[36:37]
	v_add_f64 v[32:33], v[34:35], v[42:43]
	v_add_f64 v[36:37], v[20:21], v[24:25]
	v_add_f64 v[93:94], v[26:27], v[30:31]
	v_fma_f64 v[20:21], v[67:68], -0.5, v[20:21]
	v_add_f64 v[67:68], v[34:35], -v[42:43]
	v_fma_f64 v[91:92], v[14:15], s[6:7], v[2:3]
	v_fma_f64 v[99:100], v[14:15], s[0:1], v[2:3]
	v_add_f64 v[2:3], v[95:96], v[34:35]
	v_fma_f64 v[14:15], v[32:33], -0.5, v[95:96]
	v_add_f64 v[24:25], v[24:25], -v[28:29]
	v_add_f64 v[34:35], v[22:23], v[26:27]
	v_add_f64 v[28:29], v[36:37], v[28:29]
	v_fma_f64 v[22:23], v[93:94], -0.5, v[22:23]
	v_add_f64 v[36:37], v[38:39], -v[49:50]
	v_fma_f64 v[32:33], v[67:68], s[0:1], v[20:21]
	v_fma_f64 v[20:21], v[67:68], s[6:7], v[20:21]
	v_add_f64 v[67:68], v[2:3], v[42:43]
	v_fma_f64 v[93:94], v[24:25], s[6:7], v[14:15]
	v_add_f64 v[2:3], v[38:39], v[49:50]
	;; [unrolled: 2-line block ×3, first 2 shown]
	v_add_f64 v[34:35], v[4:5], v[55:56]
	v_fma_f64 v[42:43], v[36:37], s[0:1], v[22:23]
	v_fma_f64 v[22:23], v[36:37], s[6:7], v[22:23]
	v_add_f64 v[36:37], v[40:41], v[59:60]
	v_add_f64 v[26:27], v[26:27], -v[30:31]
	v_fma_f64 v[2:3], v[2:3], -0.5, v[97:98]
	v_add_f64 v[30:31], v[0:1], v[4:5]
	v_add_f64 v[4:5], v[4:5], -v[55:56]
	v_fma_f64 v[0:1], v[34:35], -0.5, v[0:1]
	v_add_f64 v[34:35], v[40:41], -v[59:60]
	v_add_f64 v[40:41], v[69:70], v[40:41]
	v_fma_f64 v[36:37], v[36:37], -0.5, v[69:70]
	v_add_f64 v[38:39], v[97:98], v[38:39]
	v_fma_f64 v[69:70], v[26:27], s[6:7], v[2:3]
	v_fma_f64 v[26:27], v[26:27], s[0:1], v[2:3]
	v_add_f64 v[2:3], v[30:31], v[55:56]
	ds_write2_b64 v133, v[57:58], v[63:64] offset1:132
	ds_write_b64 v133, v[6:7] offset:2112
	ds_write2_b64 v78, v[44:45], v[16:17] offset1:132
	ds_write_b64 v78, v[65:66] offset:2112
	ds_write2_b64 v81, v[12:13], v[18:19] offset0:12 offset1:144
	ds_write_b64 v133, v[51:52] offset:5280
	v_fma_f64 v[30:31], v[34:35], s[0:1], v[0:1]
	v_fma_f64 v[0:1], v[34:35], s[6:7], v[0:1]
	v_add_f64 v[55:56], v[40:41], v[59:60]
	v_fma_f64 v[59:60], v[4:5], s[6:7], v[36:37]
	v_fma_f64 v[95:96], v[4:5], s[0:1], v[36:37]
	v_lshlrev_b32_e32 v4, 3, v77
	v_add3_u32 v52, 0, v4, v136
	v_add_u32_e32 v51, 0xc00, v78
	v_add_u32_e32 v57, 0x1800, v52
	v_lshlrev_b32_e32 v4, 3, v115
	ds_write2_b64 v51, v[28:29], v[32:33] offset0:12 offset1:144
	ds_write_b64 v78, v[20:21] offset:5280
	ds_write2_b64 v57, v[14:15], v[42:43] offset0:24 offset1:156
	ds_write_b64 v52, v[22:23] offset:8448
	v_add3_u32 v22, 0, v4, v136
	v_add_u32_e32 v23, 0x1800, v22
	v_add_f64 v[49:50], v[38:39], v[49:50]
	ds_write2_b64 v23, v[2:3], v[30:31] offset0:24 offset1:156
	ds_write_b64 v22, v[0:1] offset:8448
	s_waitcnt lgkmcnt(0)
	s_barrier
	ds_read_b64 v[40:41], v135
	ds_read2_b64 v[0:3], v86 offset0:74 offset1:140
	ds_read2_b64 v[4:7], v83 offset0:86 offset1:152
	;; [unrolled: 1-line block ×4, first 2 shown]
	ds_read_b64 v[44:45], v79
	ds_read2_b64 v[28:31], v82 offset0:70 offset1:136
	ds_read2_b64 v[32:35], v80 offset0:82 offset1:148
	;; [unrolled: 1-line block ×3, first 2 shown]
	ds_read_b64 v[42:43], v78
	ds_read_b64 v[20:21], v133 offset:8976
	s_waitcnt lgkmcnt(0)
	s_barrier
	ds_write2_b64 v133, v[53:54], v[71:72] offset1:132
	ds_write_b64 v133, v[73:74] offset:2112
	ds_write2_b64 v78, v[75:76], v[89:90] offset1:132
	ds_write_b64 v78, v[61:62] offset:2112
	ds_write2_b64 v81, v[87:88], v[91:92] offset0:12 offset1:144
	ds_write_b64 v133, v[99:100] offset:5280
	ds_write2_b64 v51, v[67:68], v[93:94] offset0:12 offset1:144
	ds_write_b64 v78, v[24:25] offset:5280
	ds_write2_b64 v57, v[49:50], v[69:70] offset0:24 offset1:156
	ds_write_b64 v52, v[26:27] offset:8448
	ds_write2_b64 v23, v[55:56], v[59:60] offset0:24 offset1:156
	ds_write_b64 v22, v[95:96] offset:8448
	s_waitcnt lgkmcnt(0)
	s_barrier
	s_and_saveexec_b64 s[8:9], vcc
	s_cbranch_execz .LBB0_22
; %bb.21:
	v_lshlrev_b32_e32 v120, 1, v48
	v_lshlrev_b64 v[22:23], 4, v[120:121]
	v_mov_b32_e32 v70, s13
	v_add_co_u32_e32 v22, vcc, s12, v22
	v_addc_co_u32_e32 v23, vcc, v70, v23, vcc
	s_movk_i32 s8, 0x1860
	v_add_co_u32_e32 v26, vcc, s8, v22
	v_addc_co_u32_e32 v27, vcc, 0, v23, vcc
	s_movk_i32 s9, 0x1000
	v_add_co_u32_e32 v52, vcc, s9, v22
	v_addc_co_u32_e32 v53, vcc, 0, v23, vcc
	global_load_dwordx4 v[22:25], v[52:53], off offset:2144
	global_load_dwordx4 v[48:51], v[26:27], off offset:16
	v_lshlrev_b32_e32 v120, 1, v47
	v_lshlrev_b64 v[26:27], 4, v[120:121]
	v_lshlrev_b32_e32 v120, 1, v46
	v_add_co_u32_e32 v47, vcc, s12, v26
	v_addc_co_u32_e32 v52, vcc, v70, v27, vcc
	v_add_co_u32_e32 v26, vcc, s8, v47
	v_addc_co_u32_e32 v27, vcc, 0, v52, vcc
	;; [unrolled: 2-line block ×3, first 2 shown]
	global_load_dwordx4 v[52:55], v[60:61], off offset:2144
	global_load_dwordx4 v[56:59], v[26:27], off offset:16
	v_lshlrev_b64 v[26:27], 4, v[120:121]
	v_lshlrev_b32_e32 v120, 1, v132
	v_add_co_u32_e32 v60, vcc, s12, v26
	v_addc_co_u32_e32 v61, vcc, v70, v27, vcc
	v_add_co_u32_e32 v26, vcc, s8, v60
	v_addc_co_u32_e32 v27, vcc, 0, v61, vcc
	;; [unrolled: 2-line block ×3, first 2 shown]
	v_lshlrev_b64 v[46:47], 4, v[120:121]
	global_load_dwordx4 v[60:63], v[68:69], off offset:2144
	global_load_dwordx4 v[64:67], v[26:27], off offset:16
	v_add_co_u32_e32 v46, vcc, s12, v46
	v_addc_co_u32_e32 v47, vcc, v70, v47, vcc
	v_add_co_u32_e32 v26, vcc, s8, v46
	v_addc_co_u32_e32 v27, vcc, 0, v47, vcc
	;; [unrolled: 2-line block ×3, first 2 shown]
	global_load_dwordx4 v[68:71], v[46:47], off offset:2144
	global_load_dwordx4 v[72:75], v[26:27], off offset:16
	v_add_u32_e32 v76, 0x1400, v133
	ds_read_b64 v[106:107], v79
	ds_read_b64 v[108:109], v78
	ds_read2_b64 v[76:79], v76 offset0:86 offset1:152
	v_add_u32_e32 v80, 0x800, v133
	v_add_u32_e32 v84, 0x1000, v133
	;; [unrolled: 1-line block ×3, first 2 shown]
	ds_read_b64 v[92:93], v133 offset:8976
	ds_read_b64 v[110:111], v135
	ds_read2_b64 v[80:83], v80 offset0:74 offset1:140
	ds_read2_b64 v[84:87], v84 offset0:82 offset1:148
	;; [unrolled: 1-line block ×3, first 2 shown]
	v_add_co_u32_e32 v96, vcc, s8, v10
	v_addc_co_u32_e32 v97, vcc, 0, v11, vcc
	v_add_co_u32_e32 v10, vcc, s9, v10
	v_addc_co_u32_e32 v11, vcc, 0, v11, vcc
	;; [unrolled: 2-line block ×4, first 2 shown]
	v_mul_lo_u32 v122, s5, v118
	v_mul_lo_u32 v119, s4, v119
	v_mad_u64_u32 v[104:105], s[4:5], s4, v118, 0
	s_mov_b32 s4, 0xa57eb503
	v_add3_u32 v105, v105, v119, v122
	s_waitcnt vmcnt(7)
	v_mul_f64 v[26:27], v[4:5], v[24:25]
	s_waitcnt vmcnt(6)
	v_mul_f64 v[46:47], v[20:21], v[50:51]
	s_waitcnt lgkmcnt(5)
	v_mul_f64 v[24:25], v[76:77], v[24:25]
	s_waitcnt lgkmcnt(4)
	v_mul_f64 v[50:51], v[92:93], v[50:51]
	v_fma_f64 v[26:27], v[76:77], v[22:23], -v[26:27]
	v_fma_f64 v[76:77], v[92:93], v[48:49], -v[46:47]
	v_fma_f64 v[4:5], v[4:5], v[22:23], v[24:25]
	v_fma_f64 v[24:25], v[20:21], v[48:49], v[50:51]
	global_load_dwordx4 v[46:49], v[10:11], off offset:2144
	global_load_dwordx4 v[92:95], v[96:97], off offset:16
	s_nop 0
	global_load_dwordx4 v[96:99], v[8:9], off offset:2144
	global_load_dwordx4 v[100:103], v[114:115], off offset:16
	s_waitcnt vmcnt(9)
	v_mul_f64 v[10:11], v[34:35], v[54:55]
	s_waitcnt vmcnt(8)
	v_mul_f64 v[22:23], v[38:39], v[58:59]
	v_add_f64 v[20:21], v[26:27], v[76:77]
	s_waitcnt lgkmcnt(1)
	v_mul_f64 v[50:51], v[86:87], v[54:55]
	s_waitcnt lgkmcnt(0)
	v_mul_f64 v[54:55], v[90:91], v[58:59]
	v_add_f64 v[58:59], v[4:5], -v[24:25]
	v_add_f64 v[112:113], v[4:5], v[24:25]
	v_add_f64 v[8:9], v[80:81], v[26:27]
	v_fma_f64 v[86:87], v[86:87], v[52:53], -v[10:11]
	v_fma_f64 v[90:91], v[90:91], v[56:57], -v[22:23]
	v_fma_f64 v[20:21], v[20:21], -0.5, v[80:81]
	v_fma_f64 v[80:81], v[34:35], v[52:53], v[50:51]
	v_fma_f64 v[114:115], v[38:39], v[56:57], v[54:55]
	v_add_f64 v[38:39], v[26:27], -v[76:77]
	v_fma_f64 v[34:35], v[112:113], -0.5, v[0:1]
	v_add_f64 v[26:27], v[8:9], v[76:77]
	v_add_f64 v[0:1], v[0:1], v[4:5]
	;; [unrolled: 1-line block ×3, first 2 shown]
	v_fma_f64 v[10:11], v[58:59], s[0:1], v[20:21]
	v_fma_f64 v[22:23], v[58:59], s[6:7], v[20:21]
	v_add_u32_e32 v20, 0x400, v133
	ds_read2_b64 v[50:53], v20 offset0:70 offset1:136
	v_add_f64 v[20:21], v[80:81], v[114:115]
	v_add_f64 v[56:57], v[80:81], -v[114:115]
	v_add_f64 v[76:77], v[86:87], -v[90:91]
	s_waitcnt vmcnt(7)
	v_mul_f64 v[58:59], v[32:33], v[62:63]
	s_waitcnt lgkmcnt(0)
	v_fma_f64 v[4:5], v[54:55], -0.5, v[52:53]
	v_add_f64 v[52:53], v[52:53], v[86:87]
	s_waitcnt vmcnt(6)
	v_mul_f64 v[86:87], v[36:37], v[66:67]
	v_fma_f64 v[8:9], v[38:39], s[6:7], v[34:35]
	v_fma_f64 v[112:113], v[20:21], -0.5, v[30:31]
	v_fma_f64 v[20:21], v[38:39], s[0:1], v[34:35]
	v_mul_f64 v[62:63], v[84:85], v[62:63]
	v_mul_f64 v[66:67], v[88:89], v[66:67]
	v_fma_f64 v[54:55], v[56:57], s[0:1], v[4:5]
	v_fma_f64 v[34:35], v[56:57], s[6:7], v[4:5]
	v_add_f64 v[38:39], v[52:53], v[90:91]
	v_fma_f64 v[4:5], v[88:89], v[64:65], -v[86:87]
	s_waitcnt vmcnt(5)
	v_mul_f64 v[88:89], v[14:15], v[70:71]
	s_waitcnt vmcnt(4)
	v_mul_f64 v[90:91], v[18:19], v[74:75]
	v_add_f64 v[24:25], v[0:1], v[24:25]
	v_fma_f64 v[0:1], v[84:85], v[60:61], -v[58:59]
	v_add_u32_e32 v56, 0xc00, v133
	v_add_u32_e32 v84, 0x1800, v133
	ds_read2_b64 v[56:59], v56 offset0:78 offset1:144
	ds_read2_b64 v[84:87], v84 offset0:90 offset1:156
	v_fma_f64 v[60:61], v[32:33], v[60:61], v[62:63]
	v_fma_f64 v[62:63], v[36:37], v[64:65], v[66:67]
	v_add_f64 v[30:31], v[30:31], v[80:81]
	s_waitcnt lgkmcnt(1)
	v_fma_f64 v[66:67], v[58:59], v[68:69], -v[88:89]
	s_waitcnt lgkmcnt(0)
	v_fma_f64 v[88:89], v[86:87], v[72:73], -v[90:91]
	v_mul_f64 v[58:59], v[58:59], v[70:71]
	v_mul_f64 v[64:65], v[86:87], v[74:75]
	v_add_f64 v[36:37], v[0:1], v[4:5]
	v_fma_f64 v[52:53], v[76:77], s[6:7], v[112:113]
	v_add_f64 v[70:71], v[60:61], v[62:63]
	v_fma_f64 v[32:33], v[76:77], s[0:1], v[112:113]
	v_add_f64 v[76:77], v[60:61], -v[62:63]
	v_add_f64 v[80:81], v[66:67], v[88:89]
	v_fma_f64 v[68:69], v[14:15], v[68:69], v[58:59]
	v_fma_f64 v[72:73], v[18:19], v[72:73], v[64:65]
	v_add_f64 v[14:15], v[50:51], v[0:1]
	v_fma_f64 v[74:75], v[36:37], -0.5, v[50:51]
	v_add_f64 v[0:1], v[0:1], -v[4:5]
	v_fma_f64 v[18:19], v[70:71], -0.5, v[28:29]
	v_add_f64 v[50:51], v[28:29], v[60:61]
	v_fma_f64 v[70:71], v[80:81], -0.5, v[106:107]
	v_add_f64 v[36:37], v[30:31], v[114:115]
	v_add_f64 v[80:81], v[68:69], -v[72:73]
	v_add_f64 v[64:65], v[14:15], v[4:5]
	v_fma_f64 v[30:31], v[76:77], s[0:1], v[74:75]
	v_fma_f64 v[60:61], v[76:77], s[6:7], v[74:75]
	;; [unrolled: 1-line block ×4, first 2 shown]
	v_add_f64 v[62:63], v[50:51], v[62:63]
	s_waitcnt vmcnt(3)
	v_mul_f64 v[4:5], v[12:13], v[48:49]
	v_fma_f64 v[14:15], v[80:81], s[0:1], v[70:71]
	v_fma_f64 v[18:19], v[80:81], s[6:7], v[70:71]
	v_add_f64 v[0:1], v[106:107], v[66:67]
	v_add_f64 v[50:51], v[68:69], v[72:73]
	v_mul_f64 v[48:49], v[56:57], v[48:49]
	s_waitcnt vmcnt(2)
	v_mul_f64 v[74:75], v[16:17], v[94:95]
	s_waitcnt vmcnt(0)
	v_mul_f64 v[80:81], v[6:7], v[102:103]
	v_fma_f64 v[70:71], v[56:57], v[46:47], -v[4:5]
	v_mul_f64 v[56:57], v[84:85], v[94:95]
	v_mul_f64 v[76:77], v[2:3], v[98:99]
	v_add_f64 v[4:5], v[0:1], v[88:89]
	v_add_f64 v[0:1], v[66:67], -v[88:89]
	v_fma_f64 v[50:51], v[50:51], -0.5, v[44:45]
	v_fma_f64 v[46:47], v[12:13], v[46:47], v[48:49]
	v_fma_f64 v[74:75], v[84:85], v[92:93], -v[74:75]
	v_fma_f64 v[80:81], v[78:79], v[100:101], -v[80:81]
	v_fma_f64 v[56:57], v[16:17], v[92:93], v[56:57]
	v_mul_f64 v[78:79], v[78:79], v[102:103]
	v_mul_f64 v[48:49], v[82:83], v[98:99]
	v_fma_f64 v[76:77], v[82:83], v[96:97], -v[76:77]
	v_fma_f64 v[12:13], v[0:1], s[6:7], v[50:51]
	v_fma_f64 v[16:17], v[0:1], s[0:1], v[50:51]
	v_add_f64 v[0:1], v[44:45], v[68:69]
	v_add_f64 v[66:67], v[70:71], v[74:75]
	;; [unrolled: 1-line block ×3, first 2 shown]
	v_fma_f64 v[6:7], v[6:7], v[100:101], v[78:79]
	v_add_f64 v[68:69], v[108:109], v[70:71]
	v_add_f64 v[70:71], v[70:71], -v[74:75]
	v_fma_f64 v[82:83], v[2:3], v[96:97], v[48:49]
	v_add_f64 v[48:49], v[46:47], -v[56:57]
	v_add_f64 v[2:3], v[0:1], v[72:73]
	v_fma_f64 v[50:51], v[66:67], -0.5, v[108:109]
	v_fma_f64 v[78:79], v[44:45], -0.5, v[42:43]
	v_add_f64 v[66:67], v[76:77], v[80:81]
	v_add_f64 v[0:1], v[42:43], v[46:47]
	;; [unrolled: 1-line block ×3, first 2 shown]
	v_add_f64 v[86:87], v[82:83], -v[6:7]
	v_fma_f64 v[44:45], v[48:49], s[0:1], v[50:51]
	v_fma_f64 v[42:43], v[70:71], s[6:7], v[78:79]
	;; [unrolled: 1-line block ×3, first 2 shown]
	v_mul_hi_u32 v70, v131, s4
	v_fma_f64 v[48:49], v[48:49], s[6:7], v[50:51]
	v_add_f64 v[50:51], v[82:83], v[6:7]
	v_fma_f64 v[84:85], v[66:67], -0.5, v[110:111]
	v_add_f64 v[66:67], v[0:1], v[56:57]
	v_add_f64 v[0:1], v[110:111], v[76:77]
	v_lshrrev_b32_e32 v70, 8, v70
	v_mul_u32_u24_e32 v70, 0x18c, v70
	v_sub_u32_e32 v90, v131, v70
	v_mad_u64_u32 v[88:89], s[8:9], s2, v90, 0
	v_add_f64 v[56:57], v[76:77], -v[80:81]
	v_fma_f64 v[50:51], v[50:51], -0.5, v[40:41]
	v_add_f64 v[40:41], v[40:41], v[82:83]
	v_add_f64 v[80:81], v[0:1], v[80:81]
	v_mov_b32_e32 v0, v89
	v_mad_u64_u32 v[0:1], s[8:9], s3, v90, v[0:1]
	v_fma_f64 v[72:73], v[86:87], s[0:1], v[84:85]
	v_fma_f64 v[76:77], v[86:87], s[6:7], v[84:85]
	v_mov_b32_e32 v89, v0
	v_lshlrev_b64 v[0:1], 4, v[104:105]
	v_fma_f64 v[70:71], v[56:57], s[6:7], v[50:51]
	v_fma_f64 v[74:75], v[56:57], s[0:1], v[50:51]
	v_add_f64 v[78:79], v[40:41], v[6:7]
	v_mov_b32_e32 v6, s11
	v_add_co_u32_e32 v40, vcc, s10, v0
	v_add_u32_e32 v50, 0x18c, v90
	v_addc_co_u32_e32 v41, vcc, v6, v1, vcc
	v_mad_u64_u32 v[6:7], s[0:1], s2, v50, 0
	v_lshlrev_b64 v[0:1], 4, v[116:117]
	v_add_co_u32_e32 v56, vcc, v40, v0
	v_addc_co_u32_e32 v57, vcc, v41, v1, vcc
	v_mad_u64_u32 v[40:41], s[0:1], s3, v50, v[7:8]
	v_lshlrev_b64 v[0:1], 4, v[88:89]
	v_add_co_u32_e32 v0, vcc, v56, v0
	v_addc_co_u32_e32 v1, vcc, v57, v1, vcc
	v_mov_b32_e32 v7, v40
	v_add_u32_e32 v40, 0x318, v90
	global_store_dwordx4 v[0:1], v[78:81], off
	v_lshlrev_b64 v[0:1], 4, v[6:7]
	v_mad_u64_u32 v[6:7], s[0:1], s2, v40, 0
	v_add_co_u32_e32 v0, vcc, v56, v0
	v_mad_u64_u32 v[40:41], s[0:1], s3, v40, v[7:8]
	v_add_u32_e32 v41, 0x42, v131
	v_mul_hi_u32 v50, v41, s4
	v_addc_co_u32_e32 v1, vcc, v57, v1, vcc
	v_mov_b32_e32 v7, v40
	global_store_dwordx4 v[0:1], v[74:77], off
	v_lshlrev_b64 v[0:1], 4, v[6:7]
	v_lshrrev_b32_e32 v6, 8, v50
	v_mul_u32_u24_e32 v7, 0x18c, v6
	v_sub_u32_e32 v7, v41, v7
	s_movk_i32 s0, 0x4a4
	v_mad_u32_u24 v74, v6, s0, v7
	v_mad_u64_u32 v[6:7], s[6:7], s2, v74, 0
	v_add_co_u32_e32 v0, vcc, v56, v0
	v_mad_u64_u32 v[40:41], s[6:7], s3, v74, v[7:8]
	v_add_u32_e32 v41, 0x18c, v74
	v_mad_u64_u32 v[50:51], s[6:7], s2, v41, 0
	v_addc_co_u32_e32 v1, vcc, v57, v1, vcc
	v_mov_b32_e32 v7, v40
	global_store_dwordx4 v[0:1], v[70:73], off
	v_lshlrev_b64 v[0:1], 4, v[6:7]
	v_mov_b32_e32 v6, v51
	v_mad_u64_u32 v[6:7], s[6:7], s3, v41, v[6:7]
	v_add_u32_e32 v40, 0x318, v74
	v_add_co_u32_e32 v0, vcc, v56, v0
	v_mov_b32_e32 v51, v6
	v_mad_u64_u32 v[6:7], s[6:7], s2, v40, 0
	v_addc_co_u32_e32 v1, vcc, v57, v1, vcc
	v_mad_u64_u32 v[40:41], s[6:7], s3, v40, v[7:8]
	v_add_u32_e32 v41, 0x84, v131
	global_store_dwordx4 v[0:1], v[66:69], off
	v_lshlrev_b64 v[0:1], 4, v[50:51]
	v_mul_hi_u32 v50, v41, s4
	v_add_co_u32_e32 v0, vcc, v56, v0
	v_addc_co_u32_e32 v1, vcc, v57, v1, vcc
	v_mov_b32_e32 v7, v40
	global_store_dwordx4 v[0:1], v[46:49], off
	v_lshlrev_b64 v[0:1], 4, v[6:7]
	v_lshrrev_b32_e32 v6, 8, v50
	v_mul_u32_u24_e32 v7, 0x18c, v6
	v_sub_u32_e32 v7, v41, v7
	v_mad_u32_u24 v48, v6, s0, v7
	v_mad_u64_u32 v[6:7], s[6:7], s2, v48, 0
	v_add_co_u32_e32 v0, vcc, v56, v0
	v_mad_u64_u32 v[40:41], s[6:7], s3, v48, v[7:8]
	v_addc_co_u32_e32 v1, vcc, v57, v1, vcc
	v_mov_b32_e32 v7, v40
	v_add_u32_e32 v41, 0x18c, v48
	global_store_dwordx4 v[0:1], v[42:45], off
	v_lshlrev_b64 v[0:1], 4, v[6:7]
	v_mad_u64_u32 v[46:47], s[6:7], s2, v41, 0
	v_add_co_u32_e32 v0, vcc, v56, v0
	v_addc_co_u32_e32 v1, vcc, v57, v1, vcc
	global_store_dwordx4 v[0:1], v[2:5], off
	v_mov_b32_e32 v6, v47
	v_add_u32_e32 v4, 0x318, v48
	v_mad_u64_u32 v[2:3], s[6:7], s2, v4, 0
	v_mad_u64_u32 v[6:7], s[6:7], s3, v41, v[6:7]
	;; [unrolled: 1-line block ×3, first 2 shown]
	v_mov_b32_e32 v47, v6
	v_add_u32_e32 v4, 0xc6, v131
	v_lshlrev_b64 v[0:1], 4, v[46:47]
	v_mul_hi_u32 v5, v4, s4
	v_add_co_u32_e32 v0, vcc, v56, v0
	v_addc_co_u32_e32 v1, vcc, v57, v1, vcc
	global_store_dwordx4 v[0:1], v[16:19], off
	v_lshlrev_b64 v[0:1], 4, v[2:3]
	v_lshrrev_b32_e32 v2, 8, v5
	v_mul_u32_u24_e32 v3, 0x18c, v2
	v_sub_u32_e32 v3, v4, v3
	v_mad_u32_u24 v6, v2, s0, v3
	v_mad_u64_u32 v[2:3], s[6:7], s2, v6, 0
	v_add_u32_e32 v7, 0x18c, v6
	v_add_co_u32_e32 v0, vcc, v56, v0
	v_mad_u64_u32 v[3:4], s[6:7], s3, v6, v[3:4]
	v_mad_u64_u32 v[4:5], s[6:7], s2, v7, 0
	v_addc_co_u32_e32 v1, vcc, v57, v1, vcc
	global_store_dwordx4 v[0:1], v[12:15], off
	v_lshlrev_b64 v[0:1], 4, v[2:3]
	v_mov_b32_e32 v2, v5
	v_mad_u64_u32 v[2:3], s[6:7], s3, v7, v[2:3]
	v_add_co_u32_e32 v0, vcc, v56, v0
	v_addc_co_u32_e32 v1, vcc, v57, v1, vcc
	v_mov_b32_e32 v5, v2
	global_store_dwordx4 v[0:1], v[62:65], off
	v_lshlrev_b64 v[0:1], 4, v[4:5]
	v_add_u32_e32 v4, 0x318, v6
	v_mad_u64_u32 v[2:3], s[6:7], s2, v4, 0
	v_add_co_u32_e32 v0, vcc, v56, v0
	v_mad_u64_u32 v[3:4], s[6:7], s3, v4, v[3:4]
	v_add_u32_e32 v4, 0x108, v131
	v_mul_hi_u32 v5, v4, s4
	v_addc_co_u32_e32 v1, vcc, v57, v1, vcc
	global_store_dwordx4 v[0:1], v[58:61], off
	v_lshlrev_b64 v[0:1], 4, v[2:3]
	v_lshrrev_b32_e32 v2, 8, v5
	v_mul_u32_u24_e32 v3, 0x18c, v2
	v_sub_u32_e32 v3, v4, v3
	v_mad_u32_u24 v6, v2, s0, v3
	v_mad_u64_u32 v[2:3], s[6:7], s2, v6, 0
	v_add_u32_e32 v7, 0x18c, v6
	v_add_co_u32_e32 v0, vcc, v56, v0
	v_mad_u64_u32 v[3:4], s[6:7], s3, v6, v[3:4]
	v_mad_u64_u32 v[4:5], s[6:7], s2, v7, 0
	v_addc_co_u32_e32 v1, vcc, v57, v1, vcc
	global_store_dwordx4 v[0:1], v[28:31], off
	v_lshlrev_b64 v[0:1], 4, v[2:3]
	v_mov_b32_e32 v2, v5
	v_mad_u64_u32 v[2:3], s[6:7], s3, v7, v[2:3]
	v_add_co_u32_e32 v0, vcc, v56, v0
	v_addc_co_u32_e32 v1, vcc, v57, v1, vcc
	v_mov_b32_e32 v5, v2
	global_store_dwordx4 v[0:1], v[36:39], off
	v_lshlrev_b64 v[0:1], 4, v[4:5]
	v_add_u32_e32 v4, 0x318, v6
	v_mad_u64_u32 v[2:3], s[6:7], s2, v4, 0
	v_add_u32_e32 v5, 0x14a, v131
	v_mul_hi_u32 v6, v5, s4
	v_mad_u64_u32 v[3:4], s[4:5], s3, v4, v[3:4]
	v_add_co_u32_e32 v0, vcc, v56, v0
	v_lshrrev_b32_e32 v4, 8, v6
	v_mul_u32_u24_e32 v6, 0x18c, v4
	v_sub_u32_e32 v5, v5, v6
	v_mad_u32_u24 v6, v4, s0, v5
	v_mad_u64_u32 v[4:5], s[0:1], s2, v6, 0
	v_addc_co_u32_e32 v1, vcc, v57, v1, vcc
	global_store_dwordx4 v[0:1], v[32:35], off
	v_lshlrev_b64 v[0:1], 4, v[2:3]
	v_mov_b32_e32 v2, v5
	v_mad_u64_u32 v[2:3], s[0:1], s3, v6, v[2:3]
	v_add_co_u32_e32 v0, vcc, v56, v0
	v_addc_co_u32_e32 v1, vcc, v57, v1, vcc
	v_mov_b32_e32 v5, v2
	global_store_dwordx4 v[0:1], v[52:55], off
	v_lshlrev_b64 v[0:1], 4, v[4:5]
	v_add_u32_e32 v4, 0x18c, v6
	v_mad_u64_u32 v[2:3], s[0:1], s2, v4, 0
	v_add_u32_e32 v6, 0x318, v6
	v_add_co_u32_e32 v0, vcc, v56, v0
	v_mad_u64_u32 v[3:4], s[0:1], s3, v4, v[3:4]
	v_mad_u64_u32 v[4:5], s[0:1], s2, v6, 0
	v_addc_co_u32_e32 v1, vcc, v57, v1, vcc
	global_store_dwordx4 v[0:1], v[24:27], off
	v_lshlrev_b64 v[0:1], 4, v[2:3]
	v_mov_b32_e32 v2, v5
	v_mad_u64_u32 v[2:3], s[0:1], s3, v6, v[2:3]
	v_add_co_u32_e32 v0, vcc, v56, v0
	v_addc_co_u32_e32 v1, vcc, v57, v1, vcc
	v_mov_b32_e32 v5, v2
	global_store_dwordx4 v[0:1], v[20:23], off
	v_lshlrev_b64 v[0:1], 4, v[4:5]
	v_add_co_u32_e32 v0, vcc, v56, v0
	v_addc_co_u32_e32 v1, vcc, v57, v1, vcc
	global_store_dwordx4 v[0:1], v[8:11], off
.LBB0_22:
	s_endpgm
	.section	.rodata,"a",@progbits
	.p2align	6, 0x0
	.amdhsa_kernel fft_rtc_back_len1188_factors_6_11_2_3_3_wgs_198_tpt_66_halfLds_dp_op_CI_CI_sbrr_dirReg
		.amdhsa_group_segment_fixed_size 0
		.amdhsa_private_segment_fixed_size 0
		.amdhsa_kernarg_size 104
		.amdhsa_user_sgpr_count 6
		.amdhsa_user_sgpr_private_segment_buffer 1
		.amdhsa_user_sgpr_dispatch_ptr 0
		.amdhsa_user_sgpr_queue_ptr 0
		.amdhsa_user_sgpr_kernarg_segment_ptr 1
		.amdhsa_user_sgpr_dispatch_id 0
		.amdhsa_user_sgpr_flat_scratch_init 0
		.amdhsa_user_sgpr_private_segment_size 0
		.amdhsa_uses_dynamic_stack 0
		.amdhsa_system_sgpr_private_segment_wavefront_offset 0
		.amdhsa_system_sgpr_workgroup_id_x 1
		.amdhsa_system_sgpr_workgroup_id_y 0
		.amdhsa_system_sgpr_workgroup_id_z 0
		.amdhsa_system_sgpr_workgroup_info 0
		.amdhsa_system_vgpr_workitem_id 0
		.amdhsa_next_free_vgpr 230
		.amdhsa_next_free_sgpr 42
		.amdhsa_reserve_vcc 1
		.amdhsa_reserve_flat_scratch 0
		.amdhsa_float_round_mode_32 0
		.amdhsa_float_round_mode_16_64 0
		.amdhsa_float_denorm_mode_32 3
		.amdhsa_float_denorm_mode_16_64 3
		.amdhsa_dx10_clamp 1
		.amdhsa_ieee_mode 1
		.amdhsa_fp16_overflow 0
		.amdhsa_exception_fp_ieee_invalid_op 0
		.amdhsa_exception_fp_denorm_src 0
		.amdhsa_exception_fp_ieee_div_zero 0
		.amdhsa_exception_fp_ieee_overflow 0
		.amdhsa_exception_fp_ieee_underflow 0
		.amdhsa_exception_fp_ieee_inexact 0
		.amdhsa_exception_int_div_zero 0
	.end_amdhsa_kernel
	.text
.Lfunc_end0:
	.size	fft_rtc_back_len1188_factors_6_11_2_3_3_wgs_198_tpt_66_halfLds_dp_op_CI_CI_sbrr_dirReg, .Lfunc_end0-fft_rtc_back_len1188_factors_6_11_2_3_3_wgs_198_tpt_66_halfLds_dp_op_CI_CI_sbrr_dirReg
                                        ; -- End function
	.section	.AMDGPU.csdata,"",@progbits
; Kernel info:
; codeLenInByte = 16572
; NumSgprs: 46
; NumVgprs: 230
; ScratchSize: 0
; MemoryBound: 1
; FloatMode: 240
; IeeeMode: 1
; LDSByteSize: 0 bytes/workgroup (compile time only)
; SGPRBlocks: 5
; VGPRBlocks: 57
; NumSGPRsForWavesPerEU: 46
; NumVGPRsForWavesPerEU: 230
; Occupancy: 1
; WaveLimiterHint : 1
; COMPUTE_PGM_RSRC2:SCRATCH_EN: 0
; COMPUTE_PGM_RSRC2:USER_SGPR: 6
; COMPUTE_PGM_RSRC2:TRAP_HANDLER: 0
; COMPUTE_PGM_RSRC2:TGID_X_EN: 1
; COMPUTE_PGM_RSRC2:TGID_Y_EN: 0
; COMPUTE_PGM_RSRC2:TGID_Z_EN: 0
; COMPUTE_PGM_RSRC2:TIDIG_COMP_CNT: 0
	.type	__hip_cuid_826cb16b7c206bc6,@object ; @__hip_cuid_826cb16b7c206bc6
	.section	.bss,"aw",@nobits
	.globl	__hip_cuid_826cb16b7c206bc6
__hip_cuid_826cb16b7c206bc6:
	.byte	0                               ; 0x0
	.size	__hip_cuid_826cb16b7c206bc6, 1

	.ident	"AMD clang version 19.0.0git (https://github.com/RadeonOpenCompute/llvm-project roc-6.4.0 25133 c7fe45cf4b819c5991fe208aaa96edf142730f1d)"
	.section	".note.GNU-stack","",@progbits
	.addrsig
	.addrsig_sym __hip_cuid_826cb16b7c206bc6
	.amdgpu_metadata
---
amdhsa.kernels:
  - .args:
      - .actual_access:  read_only
        .address_space:  global
        .offset:         0
        .size:           8
        .value_kind:     global_buffer
      - .offset:         8
        .size:           8
        .value_kind:     by_value
      - .actual_access:  read_only
        .address_space:  global
        .offset:         16
        .size:           8
        .value_kind:     global_buffer
      - .actual_access:  read_only
        .address_space:  global
        .offset:         24
        .size:           8
        .value_kind:     global_buffer
      - .actual_access:  read_only
        .address_space:  global
        .offset:         32
        .size:           8
        .value_kind:     global_buffer
      - .offset:         40
        .size:           8
        .value_kind:     by_value
      - .actual_access:  read_only
        .address_space:  global
        .offset:         48
        .size:           8
        .value_kind:     global_buffer
      - .actual_access:  read_only
        .address_space:  global
        .offset:         56
        .size:           8
        .value_kind:     global_buffer
      - .offset:         64
        .size:           4
        .value_kind:     by_value
      - .actual_access:  read_only
        .address_space:  global
        .offset:         72
        .size:           8
        .value_kind:     global_buffer
      - .actual_access:  read_only
        .address_space:  global
        .offset:         80
        .size:           8
        .value_kind:     global_buffer
      - .actual_access:  read_only
        .address_space:  global
        .offset:         88
        .size:           8
        .value_kind:     global_buffer
      - .actual_access:  write_only
        .address_space:  global
        .offset:         96
        .size:           8
        .value_kind:     global_buffer
    .group_segment_fixed_size: 0
    .kernarg_segment_align: 8
    .kernarg_segment_size: 104
    .language:       OpenCL C
    .language_version:
      - 2
      - 0
    .max_flat_workgroup_size: 198
    .name:           fft_rtc_back_len1188_factors_6_11_2_3_3_wgs_198_tpt_66_halfLds_dp_op_CI_CI_sbrr_dirReg
    .private_segment_fixed_size: 0
    .sgpr_count:     46
    .sgpr_spill_count: 0
    .symbol:         fft_rtc_back_len1188_factors_6_11_2_3_3_wgs_198_tpt_66_halfLds_dp_op_CI_CI_sbrr_dirReg.kd
    .uniform_work_group_size: 1
    .uses_dynamic_stack: false
    .vgpr_count:     230
    .vgpr_spill_count: 0
    .wavefront_size: 64
amdhsa.target:   amdgcn-amd-amdhsa--gfx906
amdhsa.version:
  - 1
  - 2
...

	.end_amdgpu_metadata
